;; amdgpu-corpus repo=ROCm/rocFFT kind=compiled arch=gfx1201 opt=O3
	.text
	.amdgcn_target "amdgcn-amd-amdhsa--gfx1201"
	.amdhsa_code_object_version 6
	.protected	bluestein_single_back_len2187_dim1_half_op_CI_CI ; -- Begin function bluestein_single_back_len2187_dim1_half_op_CI_CI
	.globl	bluestein_single_back_len2187_dim1_half_op_CI_CI
	.p2align	8
	.type	bluestein_single_back_len2187_dim1_half_op_CI_CI,@function
bluestein_single_back_len2187_dim1_half_op_CI_CI: ; @bluestein_single_back_len2187_dim1_half_op_CI_CI
; %bb.0:
	s_load_b128 s[16:19], s[0:1], 0x28
	v_mul_u32_u24_e32 v1, 0x10e, v0
	s_mov_b32 s2, exec_lo
	v_mov_b32_e32 v2, 0
	s_delay_alu instid0(VALU_DEP_2) | instskip(NEXT) | instid1(VALU_DEP_1)
	v_lshrrev_b32_e32 v3, 16, v1
	v_add_nc_u32_e32 v1, ttmp9, v3
	s_wait_kmcnt 0x0
	s_delay_alu instid0(VALU_DEP_1)
	v_cmpx_gt_u64_e64 s[16:17], v[1:2]
	s_cbranch_execz .LBB0_2
; %bb.1:
	s_clause 0x1
	s_load_b128 s[4:7], s[0:1], 0x18
	s_load_b128 s[8:11], s[0:1], 0x0
	v_mul_lo_u16 v2, 0xf3, v3
	s_load_b64 s[0:1], s[0:1], 0x38
	s_delay_alu instid0(VALU_DEP_1) | instskip(NEXT) | instid1(VALU_DEP_1)
	v_sub_nc_u16 v11, v0, v2
	v_and_b32_e32 v0, 0xffff, v11
	v_and_b32_e32 v13, 0xff, v11
	s_wait_kmcnt 0x0
	s_load_b128 s[12:15], s[4:5], 0x0
	s_wait_kmcnt 0x0
	v_mad_co_u64_u32 v[2:3], null, s14, v1, 0
	v_mad_co_u64_u32 v[4:5], null, s12, v0, 0
	s_mul_u64 s[2:3], s[12:13], 0xb64
	s_mul_i32 s4, s13, 0xffffed04
	s_delay_alu instid0(SALU_CYCLE_1) | instskip(NEXT) | instid1(VALU_DEP_1)
	s_sub_co_i32 s4, s4, s12
	v_mad_co_u64_u32 v[6:7], null, s15, v1, v[3:4]
	s_delay_alu instid0(VALU_DEP_1) | instskip(NEXT) | instid1(VALU_DEP_3)
	v_mov_b32_e32 v3, v6
	v_mad_co_u64_u32 v[7:8], null, s13, v0, v[5:6]
	v_lshlrev_b32_e32 v42, 2, v0
	s_clause 0x3
	global_load_b32 v37, v42, s[8:9]
	global_load_b32 v36, v42, s[8:9] offset:972
	global_load_b32 v38, v42, s[8:9] offset:2916
	;; [unrolled: 1-line block ×3, first 2 shown]
	v_mov_b32_e32 v5, v7
	v_lshlrev_b64_e32 v[2:3], 2, v[2:3]
	s_clause 0x4
	global_load_b32 v40, v42, s[8:9] offset:6804
	global_load_b32 v41, v42, s[8:9] offset:5832
	;; [unrolled: 1-line block ×5, first 2 shown]
	v_add_nc_u32_e32 v58, 0x780, v42
	v_lshlrev_b64_e32 v[4:5], 2, v[4:5]
	v_add_nc_u32_e32 v55, 0xf00, v42
	v_add_co_u32 v2, vcc_lo, s18, v2
	v_add_co_ci_u32_e32 v3, vcc_lo, s19, v3, vcc_lo
	v_add_nc_u32_e32 v56, 0x16c0, v42
	s_delay_alu instid0(VALU_DEP_3) | instskip(SKIP_1) | instid1(VALU_DEP_3)
	v_add_co_u32 v2, vcc_lo, v2, v4
	s_wait_alu 0xfffd
	v_add_co_ci_u32_e32 v3, vcc_lo, v3, v5, vcc_lo
	v_add_nc_u32_e32 v57, 0x1a80, v42
	s_delay_alu instid0(VALU_DEP_3) | instskip(SKIP_1) | instid1(VALU_DEP_3)
	v_add_co_u32 v4, vcc_lo, v2, s2
	s_wait_alu 0xfffd
	v_add_co_ci_u32_e32 v5, vcc_lo, s3, v3, vcc_lo
	global_load_b32 v14, v[2:3], off
	v_add_co_u32 v6, vcc_lo, v4, s2
	s_wait_alu 0xfffd
	v_add_co_ci_u32_e32 v7, vcc_lo, s3, v5, vcc_lo
	s_clause 0x1
	global_load_b32 v15, v[4:5], off
	global_load_b32 v16, v[6:7], off
	v_mad_co_u64_u32 v[8:9], null, 0xffffed04, s12, v[6:7]
	s_delay_alu instid0(VALU_DEP_1) | instskip(NEXT) | instid1(VALU_DEP_2)
	v_add_nc_u32_e32 v9, s4, v9
	v_add_co_u32 v2, vcc_lo, v8, s2
	s_wait_alu 0xfffd
	s_delay_alu instid0(VALU_DEP_2) | instskip(NEXT) | instid1(VALU_DEP_2)
	v_add_co_ci_u32_e32 v3, vcc_lo, s3, v9, vcc_lo
	v_add_co_u32 v4, vcc_lo, v2, s2
	global_load_b32 v17, v[8:9], off
	s_wait_alu 0xfffd
	v_add_co_ci_u32_e32 v5, vcc_lo, s3, v3, vcc_lo
	global_load_b32 v18, v[2:3], off
	v_add_co_u32 v8, null, 0xf3, v0
	v_mad_co_u64_u32 v[6:7], null, 0xffffed04, s12, v[4:5]
	global_load_b32 v19, v[4:5], off
	v_add_co_u32 v9, null, 0x1e6, v0
	v_and_b32_e32 v12, 0xffff, v8
	v_add_nc_u32_e32 v7, s4, v7
	v_add_co_u32 v2, vcc_lo, v6, s2
	s_delay_alu instid0(VALU_DEP_4) | instskip(SKIP_1) | instid1(VALU_DEP_3)
	v_and_b32_e32 v10, 0xffff, v9
	s_wait_alu 0xfffd
	v_add_co_ci_u32_e32 v3, vcc_lo, s3, v7, vcc_lo
	s_delay_alu instid0(VALU_DEP_3)
	v_add_co_u32 v4, vcc_lo, v2, s2
	global_load_b32 v6, v[6:7], off
	s_wait_alu 0xfffd
	v_add_co_ci_u32_e32 v5, vcc_lo, s3, v3, vcc_lo
	global_load_b32 v2, v[2:3], off
	global_load_b32 v3, v[4:5], off
	v_mul_lo_u16 v4, v11, 3
	v_mul_u32_u24_e32 v7, 0xaaab, v12
	v_mul_u32_u24_e32 v20, 0xaaab, v10
	v_mul_lo_u16 v5, 0xab, v13
	s_load_b128 s[4:7], s[6:7], 0x0
	v_and_b32_e32 v4, 0xffff, v4
	v_lshrrev_b32_e32 v22, 17, v7
	v_lshrrev_b32_e32 v23, 17, v20
	v_lshrrev_b16 v24, 9, v5
	v_mul_u32_u24_e32 v20, 3, v8
	v_lshlrev_b32_e32 v68, 2, v4
	v_mul_lo_u16 v4, v22, 3
	v_mul_lo_u16 v5, v23, 3
	;; [unrolled: 1-line block ×3, first 2 shown]
	v_lshlrev_b32_e32 v82, 2, v20
	s_delay_alu instid0(VALU_DEP_4) | instskip(NEXT) | instid1(VALU_DEP_4)
	v_sub_nc_u16 v25, v8, v4
	v_sub_nc_u16 v28, v9, v5
	s_wait_loadcnt 0x11
	v_lshrrev_b32_e32 v54, 16, v37
	s_wait_loadcnt 0x10
	v_lshrrev_b32_e32 v51, 16, v36
	;; [unrolled: 2-line block ×6, first 2 shown]
	v_lshrrev_b32_e32 v50, 16, v39
	s_wait_loadcnt 0xa
	v_lshrrev_b32_e32 v46, 16, v44
	s_wait_loadcnt 0x9
	;; [unrolled: 2-line block ×3, first 2 shown]
	v_lshrrev_b32_e32 v4, 16, v14
	v_mul_f16_e32 v5, v54, v14
	s_delay_alu instid0(VALU_DEP_2)
	v_mul_f16_e32 v26, v54, v4
	s_wait_loadcnt 0x7
	v_lshrrev_b32_e32 v7, 16, v15
	v_mul_f16_e32 v27, v53, v15
	s_wait_loadcnt 0x6
	v_lshrrev_b32_e32 v29, 16, v16
	v_fma_f16 v4, v37, v4, -v5
	v_mul_f16_e32 v30, v52, v16
	v_mul_f16_e32 v5, v53, v7
	v_fma_f16 v7, v38, v7, -v27
	v_mul_f16_e32 v27, v52, v29
	v_fmac_f16_e32 v26, v37, v14
	v_fma_f16 v14, v41, v29, -v30
	v_fmac_f16_e32 v5, v38, v15
	s_delay_alu instid0(VALU_DEP_4) | instskip(NEXT) | instid1(VALU_DEP_4)
	v_fmac_f16_e32 v27, v41, v16
	v_pack_b32_f16 v4, v26, v4
	s_delay_alu instid0(VALU_DEP_3) | instskip(NEXT) | instid1(VALU_DEP_3)
	v_pack_b32_f16 v5, v5, v7
	v_pack_b32_f16 v14, v27, v14
	s_wait_loadcnt 0x5
	v_lshrrev_b32_e32 v15, 16, v17
	v_mul_f16_e32 v7, v51, v17
	s_wait_loadcnt 0x4
	v_lshrrev_b32_e32 v26, 16, v18
	v_mul_f16_e32 v27, v50, v18
	v_mul_f16_e32 v16, v51, v15
	v_fma_f16 v7, v36, v15, -v7
	s_wait_loadcnt 0x3
	v_lshrrev_b32_e32 v15, 16, v19
	s_delay_alu instid0(VALU_DEP_3) | instskip(SKIP_3) | instid1(VALU_DEP_4)
	v_fmac_f16_e32 v16, v36, v17
	v_mul_f16_e32 v17, v50, v26
	v_fma_f16 v26, v39, v26, -v27
	v_mul_f16_e32 v27, v48, v19
	v_pack_b32_f16 v7, v16, v7
	v_mul_f16_e32 v16, v48, v15
	v_fmac_f16_e32 v17, v39, v18
	s_delay_alu instid0(VALU_DEP_4) | instskip(NEXT) | instid1(VALU_DEP_3)
	v_fma_f16 v15, v40, v15, -v27
	v_fmac_f16_e32 v16, v40, v19
	s_wait_loadcnt 0x2
	v_lshrrev_b32_e32 v18, 16, v6
	v_mul_f16_e32 v27, v46, v6
	s_delay_alu instid0(VALU_DEP_3)
	v_pack_b32_f16 v15, v16, v15
	s_wait_loadcnt 0x1
	v_lshrrev_b32_e32 v19, 16, v2
	s_wait_loadcnt 0x0
	v_lshrrev_b32_e32 v30, 16, v3
	v_mul_f16_e32 v29, v46, v18
	v_fma_f16 v18, v44, v18, -v27
	v_mul_f16_e32 v27, v49, v2
	v_mul_f16_e32 v31, v49, v19
	;; [unrolled: 1-line block ×4, first 2 shown]
	v_fmac_f16_e32 v29, v44, v6
	v_fma_f16 v6, v43, v19, -v27
	v_fmac_f16_e32 v31, v43, v2
	v_fma_f16 v2, v45, v30, -v32
	v_fmac_f16_e32 v33, v45, v3
	v_pack_b32_f16 v16, v29, v18
	v_pack_b32_f16 v3, v17, v26
	;; [unrolled: 1-line block ×3, first 2 shown]
	v_lshlrev_b16 v17, 1, v25
	v_pack_b32_f16 v2, v33, v2
	ds_store_b32 v42, v5 offset:2916
	ds_store_b32 v42, v14 offset:5832
	ds_store_2addr_b32 v42, v4, v7 offset1:243
	ds_store_b32 v42, v16 offset:1944
	ds_store_2addr_b32 v55, v3, v6 offset0:12 offset1:255
	ds_store_2addr_b32 v57, v15, v2 offset0:5 offset1:248
	global_wb scope:SCOPE_SE
	s_wait_dscnt 0x0
	s_wait_kmcnt 0x0
	s_barrier_signal -1
	s_barrier_wait -1
	global_inv scope:SCOPE_SE
	ds_load_2addr_b32 v[2:3], v42 offset1:243
	ds_load_2addr_b32 v[4:5], v55 offset0:12 offset1:255
	ds_load_2addr_b32 v[6:7], v56 offset0:2 offset1:245
	ds_load_2addr_b32 v[14:15], v58 offset0:6 offset1:249
	v_sub_nc_u16 v16, v11, v21
	ds_load_b32 v21, v42 offset:7776
	v_lshlrev_b16 v18, 1, v28
	v_mul_u32_u24_e32 v19, 3, v9
	v_and_b32_e32 v17, 0xffff, v17
	v_and_b32_e32 v16, 0xff, v16
	global_wb scope:SCOPE_SE
	s_wait_dscnt 0x0
	v_and_b32_e32 v18, 0xffff, v18
	v_lshlrev_b32_e32 v81, 2, v19
	v_lshlrev_b32_e32 v17, 2, v17
	;; [unrolled: 1-line block ×3, first 2 shown]
	s_barrier_signal -1
	v_lshlrev_b32_e32 v18, 2, v18
	s_barrier_wait -1
	global_inv scope:SCOPE_SE
	v_pk_add_f16 v20, v3, v4
	v_pk_add_f16 v26, v4, v7
	v_pk_add_f16 v4, v4, v7 neg_lo:[0,1] neg_hi:[0,1]
	v_pk_add_f16 v29, v2, v15
	v_pk_add_f16 v30, v15, v6
	v_pk_add_f16 v15, v15, v6 neg_lo:[0,1] neg_hi:[0,1]
	;; [unrolled: 3-line block ×3, first 2 shown]
	v_pk_fma_f16 v3, v26, 0.5, v3 op_sel_hi:[1,0,1] neg_lo:[1,0,0] neg_hi:[1,0,0]
	v_pk_mul_f16 v4, 0x3aee, v4 op_sel_hi:[0,1]
	v_pk_fma_f16 v2, v30, 0.5, v2 op_sel_hi:[1,0,1] neg_lo:[1,0,0] neg_hi:[1,0,0]
	v_pk_mul_f16 v15, 0x3aee, v15 op_sel_hi:[0,1]
	v_pk_fma_f16 v14, v31, 0.5, v14 op_sel_hi:[1,0,1] neg_lo:[1,0,0] neg_hi:[1,0,0]
	v_pk_mul_f16 v5, 0x3aee, v5 op_sel_hi:[0,1]
	v_pk_add_f16 v7, v20, v7
	v_pk_add_f16 v20, v27, v21
	v_pk_add_f16 v21, v3, v4 op_sel:[0,1] op_sel_hi:[1,0]
	v_pk_add_f16 v3, v3, v4 op_sel:[0,1] op_sel_hi:[1,0] neg_lo:[0,1] neg_hi:[0,1]
	v_pk_add_f16 v4, v2, v15 op_sel:[0,1] op_sel_hi:[1,0]
	v_pk_add_f16 v2, v2, v15 op_sel:[0,1] op_sel_hi:[1,0] neg_lo:[0,1] neg_hi:[0,1]
	;; [unrolled: 2-line block ×3, first 2 shown]
	v_pk_add_f16 v6, v29, v6
	v_bfi_b32 v14, 0xffff, v21, v3
	v_bfi_b32 v26, 0xffff, v4, v2
	;; [unrolled: 1-line block ×6, first 2 shown]
	ds_store_2addr_b32 v68, v6, v26 offset1:1
	ds_store_b32 v68, v2 offset:8
	ds_store_2addr_b32 v82, v7, v14 offset1:1
	ds_store_b32 v82, v3 offset:8
	;; [unrolled: 2-line block ×3, first 2 shown]
	global_wb scope:SCOPE_SE
	s_wait_dscnt 0x0
	s_barrier_signal -1
	s_barrier_wait -1
	global_inv scope:SCOPE_SE
	s_clause 0x2
	global_load_b64 v[20:21], v19, s[10:11]
	global_load_b64 v[26:27], v17, s[10:11]
	;; [unrolled: 1-line block ×3, first 2 shown]
	v_mul_lo_u16 v2, v13, 57
	v_mul_u32_u24_e32 v3, 0xe38f, v10
	s_delay_alu instid0(VALU_DEP_2) | instskip(SKIP_1) | instid1(VALU_DEP_3)
	v_lshrrev_b16 v32, 9, v2
	v_mul_u32_u24_e32 v2, 0xe38f, v12
	v_lshrrev_b32_e32 v34, 19, v3
	s_delay_alu instid0(VALU_DEP_3) | instskip(NEXT) | instid1(VALU_DEP_3)
	v_mul_lo_u16 v4, v32, 9
	v_lshrrev_b32_e32 v33, 19, v2
	v_and_b32_e32 v2, 0xffff, v24
	s_delay_alu instid0(VALU_DEP_4) | instskip(NEXT) | instid1(VALU_DEP_4)
	v_mul_lo_u16 v5, v34, 9
	v_sub_nc_u16 v3, v11, v4
	s_delay_alu instid0(VALU_DEP_4) | instskip(NEXT) | instid1(VALU_DEP_4)
	v_mul_lo_u16 v4, v33, 9
	v_mul_u32_u24_e32 v2, 9, v2
	s_delay_alu instid0(VALU_DEP_4) | instskip(NEXT) | instid1(VALU_DEP_4)
	v_sub_nc_u16 v60, v9, v5
	v_and_b32_e32 v35, 0xff, v3
	s_delay_alu instid0(VALU_DEP_4) | instskip(NEXT) | instid1(VALU_DEP_4)
	v_sub_nc_u16 v59, v8, v4
	v_add_lshl_u32 v70, v2, v16, 2
	v_mad_u16 v2, v22, 9, v25
	v_mad_u16 v3, v23, 9, v28
	v_lshlrev_b16 v14, 3, v60
	v_lshlrev_b16 v4, 3, v59
	v_lshlrev_b32_e32 v16, 3, v35
	v_and_b32_e32 v17, 0xffff, v2
	v_and_b32_e32 v18, 0xffff, v3
	;; [unrolled: 1-line block ×4, first 2 shown]
	ds_load_2addr_b32 v[2:3], v42 offset1:243
	ds_load_2addr_b32 v[4:5], v58 offset0:6 offset1:249
	ds_load_2addr_b32 v[6:7], v56 offset0:2 offset1:245
	;; [unrolled: 1-line block ×3, first 2 shown]
	v_lshlrev_b32_e32 v72, 2, v17
	ds_load_b32 v17, v42 offset:7776
	v_lshlrev_b32_e32 v71, 2, v18
	v_add_co_u32 v18, s2, s10, v19
	s_wait_alu 0xf1ff
	v_add_co_ci_u32_e64 v19, null, s11, 0, s2
	v_add_co_u32 v24, s2, s10, v22
	s_wait_alu 0xf1ff
	v_add_co_ci_u32_e64 v25, null, s11, 0, s2
	global_wb scope:SCOPE_SE
	s_wait_loadcnt_dscnt 0x0
	s_barrier_signal -1
	s_barrier_wait -1
	global_inv scope:SCOPE_SE
	v_lshrrev_b32_e32 v22, 16, v2
	v_lshrrev_b32_e32 v23, 16, v5
	;; [unrolled: 1-line block ×15, first 2 shown]
	v_mul_f16_e32 v66, v23, v79
	v_mul_f16_e32 v67, v5, v79
	v_mul_f16_e32 v69, v28, v80
	v_mul_f16_e32 v73, v6, v80
	v_mul_f16_e32 v74, v61, v84
	v_mul_f16_e32 v75, v14, v84
	v_mul_f16_e32 v76, v62, v83
	v_mul_f16_e32 v77, v7, v83
	v_mul_f16_e32 v78, v64, v86
	v_mul_f16_e32 v87, v15, v86
	v_mul_f16_e32 v88, v65, v85
	v_mul_f16_e32 v89, v17, v85
	v_fma_f16 v5, v5, v20, -v66
	v_fmac_f16_e32 v67, v23, v20
	v_fma_f16 v6, v6, v21, -v69
	v_fmac_f16_e32 v73, v28, v21
	;; [unrolled: 2-line block ×6, first 2 shown]
	v_add_f16_e32 v28, v5, v6
	v_add_f16_e32 v64, v67, v73
	;; [unrolled: 1-line block ×5, first 2 shown]
	v_sub_f16_e32 v78, v87, v89
	v_add_f16_e32 v88, v63, v87
	v_add_f16_e32 v87, v87, v89
	;; [unrolled: 1-line block ×3, first 2 shown]
	v_sub_f16_e32 v61, v67, v73
	v_add_f16_e32 v62, v22, v67
	v_sub_f16_e32 v5, v5, v6
	v_sub_f16_e32 v67, v75, v77
	v_add_f16_e32 v69, v29, v75
	v_add_f16_e32 v75, v4, v15
	v_fma_f16 v2, -0.5, v28, v2
	v_fmac_f16_e32 v22, -0.5, v64
	v_add_f16_e32 v65, v3, v14
	v_sub_f16_e32 v14, v14, v7
	v_fmac_f16_e32 v3, -0.5, v66
	v_fmac_f16_e32 v29, -0.5, v74
	v_sub_f16_e32 v15, v15, v17
	v_fmac_f16_e32 v4, -0.5, v76
	v_fmac_f16_e32 v63, -0.5, v87
	v_add_f16_e32 v6, v23, v6
	v_add_f16_e32 v23, v62, v73
	;; [unrolled: 1-line block ×4, first 2 shown]
	v_fmamk_f16 v64, v61, 0x3aee, v2
	v_fmac_f16_e32 v2, 0xbaee, v61
	v_fmamk_f16 v61, v5, 0xbaee, v22
	v_fmac_f16_e32 v22, 0x3aee, v5
	v_add_f16_e32 v7, v65, v7
	v_add_f16_e32 v28, v69, v77
	v_fmamk_f16 v5, v67, 0x3aee, v3
	v_fmamk_f16 v65, v14, 0xbaee, v29
	v_fmac_f16_e32 v3, 0xbaee, v67
	v_fmac_f16_e32 v29, 0x3aee, v14
	v_fmamk_f16 v14, v78, 0x3aee, v4
	v_fmamk_f16 v66, v15, 0xbaee, v63
	v_fmac_f16_e32 v4, 0xbaee, v78
	v_fmac_f16_e32 v63, 0x3aee, v15
	v_pack_b32_f16 v6, v6, v23
	v_pack_b32_f16 v15, v17, v62
	;; [unrolled: 1-line block ×9, first 2 shown]
	ds_store_2addr_b32 v70, v6, v17 offset1:3
	ds_store_b32 v70, v2 offset:24
	ds_store_2addr_b32 v72, v7, v5 offset1:3
	ds_store_b32 v72, v3 offset:24
	;; [unrolled: 2-line block ×3, first 2 shown]
	global_wb scope:SCOPE_SE
	s_wait_dscnt 0x0
	s_barrier_signal -1
	s_barrier_wait -1
	global_inv scope:SCOPE_SE
	s_clause 0x2
	global_load_b64 v[16:17], v16, s[10:11] offset:24
	global_load_b64 v[22:23], v[18:19], off offset:24
	global_load_b64 v[28:29], v[24:25], off offset:24
	v_mul_u32_u24_e32 v2, 0x2f69, v10
	v_mul_u32_u24_e32 v3, 0x2f69, v12
	v_mul_lo_u16 v4, v13, 19
	v_mul_lo_u16 v13, 0xcb, v13
	s_delay_alu instid0(VALU_DEP_4) | instskip(NEXT) | instid1(VALU_DEP_4)
	v_lshrrev_b32_e32 v2, 16, v2
	v_lshrrev_b32_e32 v3, 16, v3
	s_delay_alu instid0(VALU_DEP_4) | instskip(NEXT) | instid1(VALU_DEP_3)
	v_lshrrev_b16 v14, 9, v4
	v_sub_nc_u16 v5, v9, v2
	s_delay_alu instid0(VALU_DEP_3) | instskip(NEXT) | instid1(VALU_DEP_2)
	v_sub_nc_u16 v6, v8, v3
	v_lshrrev_b16 v4, 1, v5
	s_delay_alu instid0(VALU_DEP_2) | instskip(SKIP_2) | instid1(VALU_DEP_4)
	v_lshrrev_b16 v5, 1, v6
	v_mul_lo_u16 v6, v14, 27
	v_and_b32_e32 v14, 0xffff, v14
	v_add_nc_u16 v2, v4, v2
	s_delay_alu instid0(VALU_DEP_4)
	v_add_nc_u16 v3, v5, v3
	v_and_b32_e32 v4, 0xffff, v32
	v_sub_nc_u16 v5, v11, v6
	v_mul_u32_u24_e32 v14, 0x51, v14
	v_lshrrev_b16 v15, 4, v2
	v_lshrrev_b16 v18, 4, v3
	v_mul_u32_u24_e32 v2, 27, v4
	v_mad_u16 v3, v33, 27, v59
	v_and_b32_e32 v24, 0xff, v5
	v_mul_lo_u16 v4, v15, 27
	v_mul_lo_u16 v5, v18, 27
	v_add_lshl_u32 v88, v2, v35, 2
	v_mad_u16 v2, v34, 27, v60
	v_and_b32_e32 v3, 0xffff, v3
	v_sub_nc_u16 v19, v9, v4
	v_sub_nc_u16 v25, v8, v5
	v_lshlrev_b32_e32 v61, 3, v24
	v_and_b32_e32 v34, 0xffff, v2
	v_lshlrev_b32_e32 v89, 2, v3
	ds_load_2addr_b32 v[2:3], v42 offset1:243
	ds_load_2addr_b32 v[4:5], v58 offset0:6 offset1:249
	ds_load_2addr_b32 v[6:7], v56 offset0:2 offset1:245
	;; [unrolled: 1-line block ×3, first 2 shown]
	ds_load_b32 v62, v42 offset:7776
	v_lshlrev_b16 v35, 3, v19
	v_lshlrev_b16 v59, 3, v25
	v_lshlrev_b32_e32 v90, 2, v34
	global_wb scope:SCOPE_SE
	s_wait_loadcnt_dscnt 0x0
	s_barrier_signal -1
	v_and_b32_e32 v35, 0xffff, v35
	v_and_b32_e32 v59, 0xffff, v59
	s_barrier_wait -1
	global_inv scope:SCOPE_SE
	v_add_co_u32 v34, s2, s10, v35
	s_wait_alu 0xf1ff
	v_add_co_ci_u32_e64 v35, null, s11, 0, s2
	v_add_co_u32 v59, s2, s10, v59
	v_lshrrev_b32_e32 v64, 16, v5
	v_lshrrev_b32_e32 v65, 16, v6
	;; [unrolled: 1-line block ×9, first 2 shown]
	s_wait_alu 0xf1ff
	v_add_co_ci_u32_e64 v60, null, s11, 0, s2
	v_lshrrev_b32_e32 v98, 16, v16
	v_lshrrev_b32_e32 v99, 16, v17
	;; [unrolled: 1-line block ×6, first 2 shown]
	v_mul_f16_e32 v76, v5, v98
	v_mul_f16_e32 v77, v65, v99
	;; [unrolled: 1-line block ×12, first 2 shown]
	v_fma_f16 v6, v6, v17, -v77
	v_fmac_f16_e32 v76, v64, v16
	v_fmac_f16_e32 v87, v65, v17
	v_fma_f16 v5, v5, v16, -v96
	v_fma_f16 v7, v7, v23, -v78
	;; [unrolled: 1-line block ×3, first 2 shown]
	v_fmac_f16_e32 v94, v66, v22
	v_fmac_f16_e32 v93, v67, v23
	v_fma_f16 v33, v33, v28, -v92
	v_fmac_f16_e32 v95, v69, v28
	v_fma_f16 v62, v62, v29, -v97
	v_fmac_f16_e32 v104, v73, v29
	v_add_f16_e32 v65, v5, v6
	v_add_f16_e32 v69, v76, v87
	v_sub_f16_e32 v66, v76, v87
	v_add_f16_e32 v67, v63, v76
	v_add_f16_e32 v76, v32, v7
	;; [unrolled: 1-line block ×4, first 2 shown]
	v_sub_f16_e32 v78, v94, v93
	v_add_f16_e32 v94, v33, v62
	v_add_f16_e32 v96, v75, v95
	v_sub_f16_e32 v97, v95, v104
	v_add_f16_e32 v95, v95, v104
	v_add_f16_e32 v64, v2, v5
	v_sub_f16_e32 v5, v5, v6
	v_add_f16_e32 v92, v4, v33
	v_fmac_f16_e32 v63, -0.5, v69
	v_fma_f16 v2, -0.5, v65, v2
	v_add_f16_e32 v73, v3, v32
	v_sub_f16_e32 v32, v32, v7
	v_fmac_f16_e32 v3, -0.5, v76
	v_fmac_f16_e32 v74, -0.5, v91
	v_sub_f16_e32 v33, v33, v62
	v_fmac_f16_e32 v4, -0.5, v94
	v_fmac_f16_e32 v75, -0.5, v95
	v_add_f16_e32 v6, v64, v6
	v_add_f16_e32 v64, v67, v87
	;; [unrolled: 1-line block ×4, first 2 shown]
	v_fmamk_f16 v69, v66, 0x3aee, v2
	v_fmac_f16_e32 v2, 0xbaee, v66
	v_fmamk_f16 v66, v5, 0xbaee, v63
	v_fmac_f16_e32 v63, 0x3aee, v5
	v_add_f16_e32 v7, v73, v7
	v_add_f16_e32 v67, v77, v93
	v_fmamk_f16 v5, v78, 0x3aee, v3
	v_fmamk_f16 v73, v32, 0xbaee, v74
	v_fmac_f16_e32 v3, 0xbaee, v78
	v_fmac_f16_e32 v74, 0x3aee, v32
	v_fmamk_f16 v32, v97, 0x3aee, v4
	v_fmac_f16_e32 v4, 0xbaee, v97
	v_fmamk_f16 v76, v33, 0xbaee, v75
	v_fmac_f16_e32 v75, 0x3aee, v33
	v_pack_b32_f16 v6, v6, v64
	v_pack_b32_f16 v33, v62, v65
	;; [unrolled: 1-line block ×9, first 2 shown]
	ds_store_2addr_b32 v88, v6, v62 offset1:9
	ds_store_b32 v88, v2 offset:72
	ds_store_2addr_b32 v89, v7, v5 offset1:9
	ds_store_b32 v89, v3 offset:72
	;; [unrolled: 2-line block ×3, first 2 shown]
	global_wb scope:SCOPE_SE
	s_wait_dscnt 0x0
	s_barrier_signal -1
	s_barrier_wait -1
	global_inv scope:SCOPE_SE
	s_clause 0x2
	global_load_b64 v[2:3], v[34:35], off offset:96
	global_load_b64 v[6:7], v61, s[10:11] offset:96
	global_load_b64 v[4:5], v[59:60], off offset:96
	v_add_lshl_u32 v65, v14, v24, 2
	v_mad_u16 v62, 0x51, v18, v25
	v_mad_u16 v66, 0x51, v15, v19
	ds_load_2addr_b32 v[14:15], v55 offset0:12 offset1:255
	ds_load_b32 v69, v42 offset:7776
	ds_load_2addr_b32 v[18:19], v58 offset0:6 offset1:249
	ds_load_2addr_b32 v[24:25], v56 offset0:2 offset1:245
	ds_load_2addr_b32 v[59:60], v42 offset1:243
	v_mul_u32_u24_e32 v32, 0x6523, v10
	v_mul_u32_u24_e32 v33, 0x6523, v12
	v_lshrrev_b16 v63, 14, v13
	v_and_b32_e32 v67, 0xffff, v62
	v_and_b32_e32 v66, 0xffff, v66
	v_lshrrev_b32_e32 v12, 21, v32
	v_lshrrev_b32_e32 v13, 21, v33
	v_mul_lo_u16 v32, 0x51, v63
	v_lshlrev_b32_e32 v67, 2, v67
	v_lshlrev_b32_e32 v66, 2, v66
	v_mul_lo_u16 v33, 0x51, v12
	v_mul_lo_u16 v34, 0x51, v13
	v_sub_nc_u16 v32, v11, v32
	global_wb scope:SCOPE_SE
	s_wait_loadcnt_dscnt 0x0
	s_barrier_signal -1
	v_lshrrev_b32_e32 v94, 16, v14
	v_lshrrev_b32_e32 v87, 16, v15
	;; [unrolled: 1-line block ×6, first 2 shown]
	v_sub_nc_u16 v11, v9, v33
	v_sub_nc_u16 v33, v8, v34
	v_lshrrev_b32_e32 v97, 16, v60
	v_lshrrev_b32_e32 v104, 16, v59
	;; [unrolled: 1-line block ×3, first 2 shown]
	v_lshlrev_b16 v34, 3, v11
	v_lshlrev_b16 v35, 3, v33
	v_and_b32_e32 v32, 0xff, v32
	s_barrier_wait -1
	global_inv scope:SCOPE_SE
	v_and_b32_e32 v34, 0xffff, v34
	v_and_b32_e32 v61, 0xffff, v35
	v_lshlrev_b32_e32 v64, 3, v32
	v_mul_u32_u24_e32 v10, 0xdb3, v10
	v_mad_u16 v33, 0xf3, v13, v33
	v_add_co_u32 v34, s2, s10, v34
	s_wait_alu 0xf1ff
	v_add_co_ci_u32_e64 v35, null, s11, 0, s2
	v_add_co_u32 v61, s2, s10, v61
	s_wait_alu 0xf1ff
	v_add_co_ci_u32_e64 v62, null, s11, 0, s2
	v_lshrrev_b32_e32 v10, 16, v10
	v_lshrrev_b32_e32 v74, 16, v2
	;; [unrolled: 1-line block ×7, first 2 shown]
	v_mul_f16_e32 v110, v93, v77
	v_mul_f16_e32 v111, v19, v77
	;; [unrolled: 1-line block ×12, first 2 shown]
	v_fma_f16 v19, v19, v6, -v110
	v_fma_f16 v24, v24, v7, -v113
	v_fmac_f16_e32 v112, v94, v4
	v_fmac_f16_e32 v115, v96, v5
	;; [unrolled: 1-line block ×4, first 2 shown]
	v_fma_f16 v14, v14, v4, -v109
	v_fmac_f16_e32 v107, v87, v2
	v_fmac_f16_e32 v108, v91, v3
	v_fma_f16 v25, v25, v5, -v114
	v_fma_f16 v15, v15, v2, -v105
	;; [unrolled: 1-line block ×3, first 2 shown]
	v_add_f16_e32 v105, v112, v115
	v_add_f16_e32 v110, v19, v24
	;; [unrolled: 1-line block ×9, first 2 shown]
	v_sub_f16_e32 v19, v19, v24
	v_add_f16_e32 v113, v104, v111
	v_sub_f16_e32 v111, v111, v116
	v_sub_f16_e32 v14, v14, v25
	v_fmac_f16_e32 v97, -0.5, v105
	v_fmac_f16_e32 v104, -0.5, v114
	v_fma_f16 v59, -0.5, v110, v59
	v_add_f16_e32 v91, v18, v15
	v_add_f16_e32 v94, v92, v107
	v_sub_f16_e32 v112, v112, v115
	v_sub_f16_e32 v15, v15, v69
	v_fmac_f16_e32 v92, -0.5, v93
	v_fmac_f16_e32 v60, -0.5, v95
	v_sub_f16_e32 v107, v107, v108
	v_fmac_f16_e32 v18, -0.5, v87
	v_add_f16_e32 v24, v109, v24
	v_add_f16_e32 v87, v113, v116
	;; [unrolled: 1-line block ×3, first 2 shown]
	v_fmamk_f16 v96, v14, 0xbaee, v97
	v_fmac_f16_e32 v97, 0x3aee, v14
	v_fmamk_f16 v14, v111, 0x3aee, v59
	v_fmamk_f16 v105, v19, 0xbaee, v104
	v_fmac_f16_e32 v59, 0xbaee, v111
	v_fmac_f16_e32 v104, 0x3aee, v19
	v_add_f16_e32 v93, v106, v115
	v_fmamk_f16 v95, v15, 0xbaee, v92
	v_fmac_f16_e32 v92, 0x3aee, v15
	v_fmamk_f16 v15, v112, 0x3aee, v60
	v_fmac_f16_e32 v60, 0xbaee, v112
	v_add_f16_e32 v69, v91, v69
	v_add_f16_e32 v91, v94, v108
	v_fmamk_f16 v94, v107, 0x3aee, v18
	v_fmac_f16_e32 v18, 0xbaee, v107
	v_pack_b32_f16 v19, v24, v87
	v_pack_b32_f16 v14, v14, v105
	;; [unrolled: 1-line block ×9, first 2 shown]
	ds_store_2addr_b32 v65, v19, v14 offset1:27
	ds_store_b32 v65, v59 offset:216
	ds_store_2addr_b32 v67, v24, v15 offset1:27
	ds_store_b32 v67, v60 offset:216
	ds_store_2addr_b32 v66, v25, v69 offset1:27
	ds_store_b32 v66, v18 offset:216
	global_wb scope:SCOPE_SE
	s_wait_dscnt 0x0
	s_barrier_signal -1
	s_barrier_wait -1
	global_inv scope:SCOPE_SE
	s_clause 0x2
	global_load_b64 v[14:15], v[34:35], off offset:312
	global_load_b64 v[18:19], v[61:62], off offset:312
	global_load_b64 v[24:25], v64, s[10:11] offset:312
	v_sub_nc_u16 v34, v9, v10
	v_mad_u16 v59, 0xf3, v12, v11
	v_and_b32_e32 v62, 0xffff, v33
	s_delay_alu instid0(VALU_DEP_3) | instskip(NEXT) | instid1(VALU_DEP_3)
	v_lshrrev_b16 v34, 1, v34
	v_and_b32_e32 v87, 0xffff, v59
	s_delay_alu instid0(VALU_DEP_3) | instskip(NEXT) | instid1(VALU_DEP_3)
	v_lshlrev_b32_e32 v96, 2, v62
	v_add_nc_u16 v10, v34, v10
	v_and_b32_e32 v34, 0xffff, v63
	s_delay_alu instid0(VALU_DEP_4) | instskip(SKIP_1) | instid1(VALU_DEP_4)
	v_lshlrev_b32_e32 v95, 2, v87
	v_lshlrev_b32_e32 v63, 3, v0
	v_lshrrev_b16 v10, 7, v10
	s_delay_alu instid0(VALU_DEP_4) | instskip(NEXT) | instid1(VALU_DEP_2)
	v_mul_u32_u24_e32 v35, 0xf3, v34
	v_mul_lo_u16 v10, 0xf3, v10
	s_delay_alu instid0(VALU_DEP_2) | instskip(NEXT) | instid1(VALU_DEP_2)
	v_add_lshl_u32 v97, v35, v32, 2
	v_sub_nc_u16 v64, v9, v10
	ds_load_b32 v69, v42 offset:7776
	ds_load_2addr_b32 v[10:11], v55 offset0:12 offset1:255
	ds_load_2addr_b32 v[12:13], v56 offset0:2 offset1:245
	;; [unrolled: 1-line block ×3, first 2 shown]
	ds_load_2addr_b32 v[59:60], v42 offset1:243
	v_lshlrev_b16 v61, 3, v64
	global_wb scope:SCOPE_SE
	s_wait_loadcnt_dscnt 0x0
	s_barrier_signal -1
	s_barrier_wait -1
	global_inv scope:SCOPE_SE
	v_and_b32_e32 v61, 0xffff, v61
	v_and_b32_e32 v64, 0xffff, v64
	v_lshlrev_b32_e32 v9, 3, v9
	s_delay_alu instid0(VALU_DEP_3)
	v_add_co_u32 v61, s2, s10, v61
	s_wait_alu 0xf1ff
	v_add_co_ci_u32_e64 v62, null, s11, 0, s2
	s_add_nc_u64 s[2:3], s[8:9], 0x222c
	v_lshrrev_b32_e32 v32, 16, v69
	v_lshrrev_b32_e32 v35, 16, v11
	;; [unrolled: 1-line block ×15, first 2 shown]
	v_mul_f16_e32 v112, v32, v104
	v_mul_f16_e32 v113, v35, v105
	;; [unrolled: 1-line block ×12, first 2 shown]
	v_fma_f16 v11, v11, v14, -v113
	v_fma_f16 v12, v12, v25, -v116
	;; [unrolled: 1-line block ×3, first 2 shown]
	v_fmac_f16_e32 v121, v32, v15
	v_fmac_f16_e32 v115, v35, v14
	;; [unrolled: 1-line block ×6, first 2 shown]
	v_fma_f16 v32, v34, v24, -v123
	v_fma_f16 v10, v10, v18, -v114
	v_fma_f16 v13, v13, v19, -v117
	v_add_f16_e32 v34, v11, v69
	v_add_f16_e32 v87, v115, v121
	;; [unrolled: 1-line block ×3, first 2 shown]
	v_sub_f16_e32 v92, v115, v121
	v_add_f16_e32 v113, v118, v119
	v_add_f16_e32 v115, v59, v32
	;; [unrolled: 1-line block ×9, first 2 shown]
	v_sub_f16_e32 v32, v32, v12
	v_sub_f16_e32 v122, v122, v120
	;; [unrolled: 1-line block ×3, first 2 shown]
	v_fmac_f16_e32 v33, -0.5, v34
	v_fmac_f16_e32 v110, -0.5, v113
	v_add_f16_e32 v12, v115, v12
	v_add_f16_e32 v34, v117, v120
	v_fmac_f16_e32 v111, -0.5, v123
	v_fma_f16 v59, -0.5, v116, v59
	v_sub_f16_e32 v11, v11, v69
	v_sub_f16_e32 v118, v118, v119
	v_fmac_f16_e32 v93, -0.5, v87
	v_fmac_f16_e32 v60, -0.5, v94
	v_fmamk_f16 v94, v10, 0xbaee, v110
	v_fmac_f16_e32 v110, 0x3aee, v10
	v_pack_b32_f16 v10, v12, v34
	v_fmamk_f16 v12, v122, 0x3aee, v59
	v_fmamk_f16 v34, v32, 0xbaee, v111
	v_fmac_f16_e32 v59, 0xbaee, v122
	v_fmac_f16_e32 v111, 0x3aee, v32
	v_add_f16_e32 v13, v112, v13
	v_add_f16_e32 v87, v114, v119
	;; [unrolled: 1-line block ×4, first 2 shown]
	v_fmamk_f16 v91, v92, 0x3aee, v33
	v_fmac_f16_e32 v33, 0xbaee, v92
	v_fmamk_f16 v92, v11, 0xbaee, v93
	v_fmac_f16_e32 v93, 0x3aee, v11
	;; [unrolled: 2-line block ×3, first 2 shown]
	v_pack_b32_f16 v12, v12, v34
	v_pack_b32_f16 v34, v59, v111
	;; [unrolled: 1-line block ×8, first 2 shown]
	ds_store_2addr_b32 v97, v10, v12 offset1:81
	ds_store_b32 v97, v34 offset:648
	ds_store_2addr_b32 v96, v13, v11 offset1:81
	ds_store_b32 v96, v35 offset:648
	ds_store_2addr_b32 v95, v32, v59 offset1:81
	ds_store_b32 v95, v33 offset:648
	global_wb scope:SCOPE_SE
	s_wait_dscnt 0x0
	s_barrier_signal -1
	s_barrier_wait -1
	global_inv scope:SCOPE_SE
	s_clause 0x1
	global_load_b64 v[32:33], v[61:62], off offset:960
	global_load_b64 v[34:35], v63, s[10:11] offset:960
	ds_load_b32 v110, v42 offset:7776
	ds_load_2addr_b32 v[10:11], v55 offset0:12 offset1:255
	ds_load_2addr_b32 v[12:13], v58 offset0:6 offset1:249
	;; [unrolled: 1-line block ×3, first 2 shown]
	ds_load_2addr_b32 v[61:62], v42 offset1:243
	v_lshlrev_b32_e32 v69, 2, v64
	v_lshlrev_b32_e32 v64, 3, v8
	global_wb scope:SCOPE_SE
	s_wait_loadcnt_dscnt 0x0
	s_barrier_signal -1
	s_barrier_wait -1
	v_add_nc_u32_e32 v87, 0x16c0, v69
	global_inv scope:SCOPE_SE
	v_lshrrev_b32_e32 v8, 16, v110
	v_lshrrev_b32_e32 v111, 16, v11
	;; [unrolled: 1-line block ×13, first 2 shown]
	s_delay_alu instid0(VALU_DEP_4) | instskip(NEXT) | instid1(VALU_DEP_4)
	v_mul_f16_e32 v119, v8, v91
	v_mul_f16_e32 v120, v111, v92
	;; [unrolled: 1-line block ×8, first 2 shown]
	v_mul_f16_e64 v129, v59, v93
	v_mul_f16_e64 v130, v60, v93
	v_mul_f16_e32 v125, v114, v94
	v_mul_f16_e64 v128, v116, v93
	v_fma_f16 v110, v110, v33, -v119
	v_fma_f16 v11, v11, v32, -v120
	v_fmac_f16_e32 v121, v8, v33
	v_fmac_f16_e32 v122, v111, v32
	v_fma_f16 v8, v13, v34, -v123
	v_fma_f16 v13, v59, v35, -v127
	v_fmac_f16_e32 v124, v113, v34
	v_fmac_f16_e64 v129, v115, v35
	v_fmac_f16_e32 v126, v114, v34
	v_fmac_f16_e64 v130, v116, v35
	v_fma_f16 v10, v10, v34, -v125
	v_fma_f16 v59, v60, v35, -v128
	v_add_f16_e32 v60, v11, v110
	v_add_f16_e32 v113, v122, v121
	;; [unrolled: 1-line block ×3, first 2 shown]
	v_sub_f16_e32 v115, v122, v121
	v_add_f16_e64 v120, v126, v130
	v_add_f16_e32 v122, v117, v126
	v_sub_f16_e64 v123, v126, v130
	v_add_f16_e32 v125, v8, v13
	v_add_f16_e32 v126, v61, v8
	;; [unrolled: 1-line block ×3, first 2 shown]
	v_add_f16_e64 v128, v124, v129
	v_add_f16_e32 v116, v10, v59
	v_add_f16_e32 v111, v12, v11
	v_add_f16_e32 v119, v62, v10
	v_sub_f16_e32 v10, v10, v59
	v_sub_f16_e64 v124, v124, v129
	v_sub_f16_e32 v8, v8, v13
	v_fmac_f16_e32 v12, -0.5, v60
	v_fmac_f16_e32 v117, -0.5, v120
	v_fma_f16 v60, -0.5, v125, v61
	v_add_f16_e64 v61, v127, v129
	v_add_f16_e32 v13, v126, v13
	v_fmac_f16_e64 v118, -0.5, v128
	v_sub_f16_e32 v11, v11, v110
	v_fmac_f16_e32 v112, -0.5, v113
	v_fmac_f16_e32 v62, -0.5, v116
	v_fmamk_f16 v116, v10, 0xbaee, v117
	v_fmac_f16_e32 v117, 0x3aee, v10
	v_pack_b32_f16 v10, v13, v61
	v_fmamk_f16 v13, v124, 0x3aee, v60
	v_fmamk_f16 v61, v8, 0xbaee, v118
	v_add_f16_e32 v59, v119, v59
	v_add_f16_e64 v113, v122, v130
	v_fmac_f16_e32 v60, 0xbaee, v124
	v_fmac_f16_e32 v118, 0x3aee, v8
	v_add_f16_e32 v110, v111, v110
	v_add_f16_e32 v111, v114, v121
	v_fmamk_f16 v114, v115, 0x3aee, v12
	v_fmac_f16_e32 v12, 0xbaee, v115
	v_fmamk_f16 v115, v11, 0xbaee, v112
	v_fmac_f16_e32 v112, 0x3aee, v11
	;; [unrolled: 2-line block ×3, first 2 shown]
	v_pack_b32_f16 v13, v13, v61
	v_pack_b32_f16 v8, v59, v113
	;; [unrolled: 1-line block ×8, first 2 shown]
	ds_store_2addr_b32 v42, v10, v13 offset1:243
	ds_store_2addr_b32 v58, v60, v8 offset0:6 offset1:249
	ds_store_2addr_b32 v55, v11, v62 offset0:12 offset1:255
	;; [unrolled: 1-line block ×3, first 2 shown]
	ds_store_b32 v69, v12 offset:7776
	global_wb scope:SCOPE_SE
	s_wait_dscnt 0x0
	s_barrier_signal -1
	s_barrier_wait -1
	global_inv scope:SCOPE_SE
	s_clause 0x2
	global_load_b64 v[8:9], v9, s[10:11] offset:2904
	global_load_b64 v[12:13], v63, s[10:11] offset:2904
	;; [unrolled: 1-line block ×3, first 2 shown]
	ds_load_b32 v118, v42 offset:7776
	ds_load_2addr_b32 v[110:111], v55 offset0:12 offset1:255
	ds_load_2addr_b32 v[112:113], v58 offset0:6 offset1:249
	;; [unrolled: 1-line block ×3, first 2 shown]
	ds_load_2addr_b32 v[116:117], v42 offset1:243
	s_wait_dscnt 0x4
	v_lshrrev_b32_e32 v119, 16, v118
	s_wait_dscnt 0x3
	v_lshrrev_b32_e32 v120, 16, v111
	;; [unrolled: 2-line block ×4, first 2 shown]
	v_lshrrev_b32_e32 v123, 16, v110
	v_lshrrev_b32_e32 v125, 16, v115
	s_wait_dscnt 0x0
	v_lshrrev_b32_e32 v126, 16, v117
	v_lshrrev_b32_e32 v121, 16, v112
	;; [unrolled: 1-line block ×3, first 2 shown]
	s_wait_loadcnt 0x2
	v_lshrrev_b32_e32 v59, 16, v9
	v_lshrrev_b32_e32 v60, 16, v8
	s_wait_loadcnt 0x1
	v_lshrrev_b32_e32 v63, 16, v12
	s_wait_loadcnt 0x0
	v_lshrrev_b32_e32 v61, 16, v10
	v_lshrrev_b32_e32 v64, 16, v13
	;; [unrolled: 1-line block ×3, first 2 shown]
	v_mul_f16_e64 v128, v119, v59
	v_mul_f16_e64 v131, v120, v60
	;; [unrolled: 1-line block ×9, first 2 shown]
	v_fma_f16 v118, v118, v9, -v128
	v_mul_f16_e64 v128, v115, v62
	v_fma_f16 v111, v111, v8, -v131
	v_mul_f16_e64 v134, v123, v61
	v_mul_f16_e64 v137, v125, v62
	v_fmac_f16_e64 v129, v119, v9
	v_fmac_f16_e64 v130, v120, v8
	v_fma_f16 v113, v113, v12, -v132
	v_fma_f16 v114, v114, v13, -v136
	v_fmac_f16_e64 v133, v122, v12
	v_fmac_f16_e64 v138, v124, v13
	;; [unrolled: 1-line block ×4, first 2 shown]
	v_add_f16_e32 v119, v111, v118
	v_fma_f16 v110, v110, v10, -v134
	v_fma_f16 v115, v115, v11, -v137
	v_add_f16_e32 v120, v112, v111
	v_add_f16_e64 v122, v130, v129
	v_add_f16_e64 v131, v135, v128
	;; [unrolled: 1-line block ×3, first 2 shown]
	v_sub_f16_e64 v134, v135, v128
	v_add_f16_e64 v135, v113, v114
	v_fmac_f16_e32 v112, -0.5, v119
	v_add_f16_e64 v119, v133, v138
	v_add_f16_e32 v125, v110, v115
	v_add_f16_e64 v123, v121, v130
	v_sub_f16_e64 v124, v130, v129
	v_add_f16_e64 v130, v117, v110
	v_sub_f16_e32 v110, v110, v115
	v_add_f16_e64 v136, v116, v113
	v_sub_f16_e32 v113, v113, v114
	v_fmac_f16_e32 v121, -0.5, v122
	v_add_f16_e64 v122, v127, v133
	v_sub_f16_e64 v133, v133, v138
	v_fmac_f16_e64 v126, -0.5, v131
	v_fma_f16 v116, -0.5, v135, v116
	v_fmac_f16_e32 v127, -0.5, v119
	v_sub_f16_e32 v111, v111, v118
	v_fmac_f16_e32 v117, -0.5, v125
	v_add_f16_e64 v119, v122, v138
	v_add_f16_e64 v122, v132, v128
	v_fmamk_f16 v125, v110, 0xbaee, v126
	v_fmac_f16_e32 v126, 0x3aee, v110
	v_fma_f16 v110, 0x3aee, v133, v116
	v_fma_f16 v128, 0xbaee, v113, v127
	v_fmac_f16_e64 v116, 0xbaee, v133
	v_fmac_f16_e32 v127, 0x3aee, v113
	v_add_f16_e64 v114, v136, v114
	v_add_f16_e64 v115, v130, v115
	v_add_f16_e32 v118, v120, v118
	v_add_f16_e64 v120, v123, v129
	v_fmamk_f16 v123, v124, 0x3aee, v112
	v_fmac_f16_e32 v112, 0xbaee, v124
	v_fmamk_f16 v124, v111, 0xbaee, v121
	v_fmac_f16_e32 v121, 0x3aee, v111
	v_fma_f16 v111, 0x3aee, v134, v117
	v_fmac_f16_e64 v117, 0xbaee, v134
	v_pack_b32_f16 v110, v110, v128
	v_pack_b32_f16 v116, v116, v127
	;; [unrolled: 1-line block ×9, first 2 shown]
	ds_store_b32 v42, v110 offset:2916
	ds_store_b32 v42, v116 offset:5832
	ds_store_2addr_b32 v42, v113, v114 offset1:243
	ds_store_2addr_b32 v55, v111, v118 offset0:12 offset1:255
	ds_store_2addr_b32 v57, v117, v112 offset0:5 offset1:248
	ds_store_b32 v42, v115 offset:1944
	global_wb scope:SCOPE_SE
	s_wait_dscnt 0x0
	s_barrier_signal -1
	s_barrier_wait -1
	global_inv scope:SCOPE_SE
	s_clause 0x8
	global_load_b32 v112, v42, s[8:9] offset:8748
	global_load_b32 v118, v42, s[2:3] offset:2916
	;; [unrolled: 1-line block ×9, first 2 shown]
	ds_load_2addr_b32 v[110:111], v42 offset1:243
	ds_load_b32 v126, v42 offset:7776
	v_add_nc_u32_e32 v127, 0xb40, v42
	s_mul_i32 s2, s5, 0xffffed04
	s_wait_dscnt 0x1
	v_lshrrev_b32_e32 v114, 16, v110
	s_wait_dscnt 0x0
	v_lshrrev_b32_e32 v129, 16, v126
	v_lshrrev_b32_e32 v128, 16, v111
	s_wait_loadcnt 0x7
	v_lshrrev_b32_e32 v130, 16, v118
	s_wait_loadcnt 0x5
	;; [unrolled: 2-line block ×3, first 2 shown]
	v_lshrrev_b32_e32 v131, 16, v121
	v_lshrrev_b32_e32 v113, 16, v112
	s_delay_alu instid0(VALU_DEP_3)
	v_mul_f16_e64 v134, v129, v116
	v_mul_f16_e64 v135, v126, v116
	s_wait_loadcnt 0x0
	v_lshrrev_b32_e32 v132, 16, v125
	v_mul_f16_e32 v115, v110, v113
	v_mul_f16_e32 v113, v114, v113
	v_fmac_f16_e64 v135, v129, v120
	s_delay_alu instid0(VALU_DEP_3) | instskip(NEXT) | instid1(VALU_DEP_3)
	v_fmac_f16_e32 v115, v114, v112
	v_fma_f16 v110, v110, v112, -v113
	s_delay_alu instid0(VALU_DEP_1)
	v_pack_b32_f16 v110, v110, v115
	ds_store_b32 v42, v110
	ds_load_2addr_b32 v[112:113], v58 offset0:6 offset1:249
	ds_load_2addr_b32 v[114:115], v55 offset0:12 offset1:255
	v_lshrrev_b32_e32 v110, 16, v119
	ds_load_2addr_b32 v[116:117], v56 offset0:2 offset1:245
	v_mul_f16_e64 v133, v128, v110
	v_mul_f16_e32 v110, v111, v110
	s_delay_alu instid0(VALU_DEP_2) | instskip(NEXT) | instid1(VALU_DEP_2)
	v_fma_f16 v111, v111, v119, -v133
	v_fmac_f16_e64 v110, v128, v119
	v_fma_f16 v119, v126, v120, -v134
	v_lshrrev_b32_e32 v120, 16, v122
	v_lshrrev_b32_e32 v126, 16, v123
	;; [unrolled: 1-line block ×3, first 2 shown]
	v_pack_b32_f16 v110, v111, v110
	v_pack_b32_f16 v111, v119, v135
	s_wait_dscnt 0x2
	v_lshrrev_b32_e32 v119, 16, v113
	v_mul_f16_e64 v129, v113, v130
	v_lshrrev_b32_e32 v135, 16, v112
	v_mul_f16_e64 v136, v112, v132
	s_wait_dscnt 0x1
	v_lshrrev_b32_e32 v133, 16, v114
	v_mul_f16_e64 v134, v114, v131
	v_lshrrev_b32_e32 v137, 16, v115
	v_mul_f16_e64 v130, v119, v130
	v_fmac_f16_e64 v129, v119, v118
	s_wait_dscnt 0x0
	v_lshrrev_b32_e32 v119, 16, v116
	v_mul_f16_e64 v138, v115, v120
	v_mul_f16_e64 v132, v135, v132
	v_fmac_f16_e64 v136, v135, v125
	v_lshrrev_b32_e32 v135, 16, v117
	v_mul_f16_e64 v131, v133, v131
	v_fmac_f16_e64 v134, v133, v121
	v_mul_f16_e64 v133, v116, v126
	v_mul_f16_e64 v120, v137, v120
	v_mul_f16_e32 v126, v119, v126
	v_fmac_f16_e64 v138, v137, v122
	v_mul_f16_e64 v137, v117, v128
	v_mul_f16_e64 v128, v135, v128
	v_fma_f16 v113, v113, v118, -v130
	v_fma_f16 v114, v114, v121, -v131
	;; [unrolled: 1-line block ×3, first 2 shown]
	v_fmac_f16_e64 v133, v119, v123
	v_fma_f16 v115, v115, v122, -v120
	v_fma_f16 v116, v116, v123, -v126
	v_fmac_f16_e64 v137, v135, v124
	v_fma_f16 v117, v117, v124, -v128
	v_pack_b32_f16 v113, v113, v129
	v_pack_b32_f16 v114, v114, v134
	v_add_nc_u32_e32 v119, 0x3c0, v42
	v_pack_b32_f16 v112, v112, v136
	v_add_nc_u32_e32 v135, 0x12e0, v42
	v_pack_b32_f16 v116, v116, v133
	v_pack_b32_f16 v115, v115, v138
	;; [unrolled: 1-line block ×3, first 2 shown]
	ds_store_2addr_b32 v127, v113, v114 offset0:9 offset1:252
	ds_store_2addr_b32 v119, v110, v112 offset0:3 offset1:246
	;; [unrolled: 1-line block ×4, first 2 shown]
	global_wb scope:SCOPE_SE
	s_wait_dscnt 0x0
	s_barrier_signal -1
	s_barrier_wait -1
	global_inv scope:SCOPE_SE
	ds_load_2addr_b32 v[110:111], v56 offset0:2 offset1:245
	ds_load_2addr_b32 v[112:113], v58 offset0:6 offset1:249
	ds_load_2addr_b32 v[114:115], v42 offset1:243
	ds_load_2addr_b32 v[116:117], v55 offset0:12 offset1:255
	ds_load_b32 v118, v42 offset:7776
	global_wb scope:SCOPE_SE
	s_wait_dscnt 0x0
	s_barrier_signal -1
	s_barrier_wait -1
	global_inv scope:SCOPE_SE
	v_pk_add_f16 v119, v113, v110
	v_pk_add_f16 v120, v113, v110 neg_lo:[0,1] neg_hi:[0,1]
	v_pk_add_f16 v113, v114, v113
	v_pk_add_f16 v121, v116, v111
	;; [unrolled: 1-line block ×3, first 2 shown]
	v_pk_add_f16 v116, v116, v111 neg_lo:[0,1] neg_hi:[0,1]
	v_pk_add_f16 v123, v117, v118
	v_pk_add_f16 v124, v112, v117
	v_pk_add_f16 v117, v117, v118 neg_lo:[0,1] neg_hi:[0,1]
	v_pk_fma_f16 v114, v119, 0.5, v114 op_sel_hi:[1,0,1] neg_lo:[1,0,0] neg_hi:[1,0,0]
	v_pk_mul_f16 v119, 0x3aee, v120 op_sel_hi:[0,1]
	v_pk_add_f16 v110, v113, v110
	v_pk_fma_f16 v113, v121, 0.5, v115 op_sel_hi:[1,0,1] neg_lo:[1,0,0] neg_hi:[1,0,0]
	v_pk_mul_f16 v115, 0x3aee, v116 op_sel_hi:[0,1]
	v_pk_fma_f16 v112, v123, 0.5, v112 op_sel_hi:[1,0,1] neg_lo:[1,0,0] neg_hi:[1,0,0]
	v_pk_mul_f16 v116, 0x3aee, v117 op_sel_hi:[0,1]
	v_pk_add_f16 v117, v124, v118
	v_pk_add_f16 v118, v114, v119 op_sel:[0,1] op_sel_hi:[1,0] neg_lo:[0,1] neg_hi:[0,1]
	v_pk_add_f16 v114, v114, v119 op_sel:[0,1] op_sel_hi:[1,0]
	v_pk_add_f16 v119, v113, v115 op_sel:[0,1] op_sel_hi:[1,0] neg_lo:[0,1] neg_hi:[0,1]
	v_pk_add_f16 v113, v113, v115 op_sel:[0,1] op_sel_hi:[1,0]
	;; [unrolled: 2-line block ×3, first 2 shown]
	v_bfi_b32 v116, 0xffff, v118, v114
	v_bfi_b32 v114, 0xffff, v114, v118
	v_pk_add_f16 v111, v122, v111
	v_bfi_b32 v118, 0xffff, v119, v113
	v_bfi_b32 v113, 0xffff, v113, v119
	;; [unrolled: 1-line block ×4, first 2 shown]
	ds_store_2addr_b32 v68, v110, v116 offset1:1
	ds_store_b32 v68, v114 offset:8
	ds_store_2addr_b32 v82, v111, v118 offset1:1
	ds_store_b32 v82, v113 offset:8
	ds_store_2addr_b32 v81, v117, v119 offset1:1
	ds_store_b32 v81, v112 offset:8
	global_wb scope:SCOPE_SE
	s_wait_dscnt 0x0
	s_barrier_signal -1
	s_barrier_wait -1
	global_inv scope:SCOPE_SE
	ds_load_2addr_b32 v[81:82], v55 offset0:12 offset1:255
	ds_load_b32 v68, v42 offset:7776
	ds_load_2addr_b32 v[110:111], v56 offset0:2 offset1:245
	ds_load_2addr_b32 v[112:113], v58 offset0:6 offset1:249
	ds_load_2addr_b32 v[114:115], v42 offset1:243
	global_wb scope:SCOPE_SE
	s_wait_dscnt 0x0
	s_barrier_signal -1
	s_barrier_wait -1
	global_inv scope:SCOPE_SE
	v_lshrrev_b32_e32 v116, 16, v82
	v_mul_f16_e32 v117, v86, v82
	v_lshrrev_b32_e32 v118, 16, v68
	v_mul_f16_e32 v119, v85, v68
	;; [unrolled: 2-line block ×3, first 2 shown]
	v_lshrrev_b32_e32 v122, 16, v111
	v_lshrrev_b32_e32 v124, 16, v110
	v_mul_f16_e32 v125, v80, v110
	v_lshrrev_b32_e32 v126, 16, v113
	v_mul_f16_e32 v127, v79, v113
	v_mul_f16_e32 v123, v83, v111
	;; [unrolled: 1-line block ×3, first 2 shown]
	v_fma_f16 v116, v30, v116, -v117
	v_mul_f16_e32 v85, v85, v118
	v_fma_f16 v117, v31, v118, -v119
	v_mul_f16_e32 v84, v84, v120
	;; [unrolled: 2-line block ×3, first 2 shown]
	v_mul_f16_e32 v80, v80, v124
	v_mul_f16_e32 v79, v79, v126
	v_fma_f16 v120, v20, v126, -v127
	v_fma_f16 v121, v21, v124, -v125
	v_lshrrev_b32_e32 v128, 16, v112
	v_lshrrev_b32_e32 v130, 16, v114
	v_fma_f16 v119, v27, v122, -v123
	v_fmac_f16_e32 v85, v31, v68
	v_fmac_f16_e32 v86, v30, v82
	;; [unrolled: 1-line block ×6, first 2 shown]
	v_add_f16_e32 v20, v116, v117
	v_add_f16_e32 v31, v120, v121
	v_lshrrev_b32_e32 v129, 16, v115
	v_add_f16_e64 v21, v128, v116
	v_add_f16_e32 v27, v118, v119
	v_add_f16_e64 v68, v130, v120
	v_fmac_f16_e64 v128, -0.5, v20
	v_add_f16_e32 v20, v86, v85
	v_fmac_f16_e64 v130, -0.5, v31
	v_add_f16_e32 v31, v84, v83
	v_add_f16_e32 v111, v114, v79
	v_sub_f16_e32 v113, v79, v80
	v_add_f16_e32 v79, v79, v80
	v_sub_f16_e32 v26, v116, v117
	v_add_f16_e64 v30, v129, v118
	v_sub_f16_e32 v81, v120, v121
	v_sub_f16_e32 v82, v118, v119
	v_add_f16_e32 v110, v112, v86
	v_fmac_f16_e64 v129, -0.5, v27
	v_add_f16_e32 v27, v68, v121
	v_add_f16_e32 v68, v115, v84
	v_sub_f16_e32 v84, v84, v83
	v_fmac_f16_e32 v112, -0.5, v20
	v_fmac_f16_e32 v115, -0.5, v31
	v_fma_f16 v79, -0.5, v79, v114
	v_sub_f16_e32 v86, v86, v85
	v_fma_f16 v31, 0x3aee, v84, v129
	v_fmac_f16_e64 v129, 0xbaee, v84
	v_add_f16_e32 v80, v111, v80
	v_fma_f16 v84, 0x3aee, v113, v130
	v_add_f16_e32 v68, v68, v83
	v_add_f16_e32 v83, v110, v85
	v_fmamk_f16 v85, v26, 0xbaee, v112
	v_fmac_f16_e32 v112, 0x3aee, v26
	v_fmamk_f16 v26, v82, 0xbaee, v115
	v_fmac_f16_e32 v115, 0x3aee, v82
	v_fmamk_f16 v82, v81, 0xbaee, v79
	v_fmac_f16_e64 v130, 0xbaee, v113
	v_fmac_f16_e32 v79, 0x3aee, v81
	v_add_f16_e32 v30, v30, v119
	v_add_f16_e32 v21, v21, v117
	v_fma_f16 v20, 0x3aee, v86, v128
	v_fmac_f16_e64 v128, 0xbaee, v86
	v_pack_b32_f16 v27, v80, v27
	v_pack_b32_f16 v80, v82, v84
	v_pack_b32_f16 v79, v79, v130
	v_pack_b32_f16 v30, v68, v30
	v_pack_b32_f16 v26, v26, v31
	v_pack_b32_f16 v31, v115, v129
	v_pack_b32_f16 v21, v83, v21
	v_pack_b32_f16 v68, v112, v128
	v_pack_b32_f16 v20, v85, v20
	ds_store_2addr_b32 v70, v27, v80 offset1:3
	ds_store_b32 v70, v79 offset:24
	ds_store_2addr_b32 v72, v30, v26 offset1:3
	ds_store_b32 v72, v31 offset:24
	;; [unrolled: 2-line block ×3, first 2 shown]
	global_wb scope:SCOPE_SE
	s_wait_dscnt 0x0
	s_barrier_signal -1
	s_barrier_wait -1
	global_inv scope:SCOPE_SE
	ds_load_2addr_b32 v[20:21], v55 offset0:12 offset1:255
	ds_load_b32 v68, v42 offset:7776
	ds_load_2addr_b32 v[26:27], v56 offset0:2 offset1:245
	ds_load_2addr_b32 v[30:31], v58 offset0:6 offset1:249
	ds_load_2addr_b32 v[70:71], v42 offset1:243
	global_wb scope:SCOPE_SE
	s_wait_dscnt 0x0
	s_barrier_signal -1
	s_barrier_wait -1
	global_inv scope:SCOPE_SE
	v_lshrrev_b32_e32 v72, 16, v21
	v_mul_f16_e32 v79, v102, v21
	v_lshrrev_b32_e32 v80, 16, v68
	v_mul_f16_e32 v81, v103, v68
	;; [unrolled: 2-line block ×4, first 2 shown]
	v_lshrrev_b32_e32 v86, 16, v26
	v_lshrrev_b32_e32 v111, 16, v31
	v_mul_f16_e32 v110, v99, v26
	v_mul_f16_e32 v112, v98, v31
	;; [unrolled: 1-line block ×4, first 2 shown]
	v_fma_f16 v72, v28, v72, -v79
	v_fma_f16 v79, v29, v80, -v81
	v_mul_f16_e32 v80, v101, v82
	v_fma_f16 v81, v22, v82, -v83
	v_mul_f16_e32 v82, v100, v84
	;; [unrolled: 2-line block ×3, first 2 shown]
	v_mul_f16_e32 v85, v98, v111
	v_lshrrev_b32_e32 v115, 16, v30
	v_fma_f16 v98, v16, v111, -v112
	v_fma_f16 v86, v17, v86, -v110
	v_lshrrev_b32_e32 v113, 16, v71
	v_fmac_f16_e32 v80, v22, v20
	v_fmac_f16_e32 v82, v23, v27
	;; [unrolled: 1-line block ×4, first 2 shown]
	v_add_f16_e32 v16, v81, v83
	v_lshrrev_b32_e32 v114, 16, v70
	v_fmac_f16_e32 v103, v29, v68
	v_fmac_f16_e32 v102, v28, v21
	v_add_f16_e32 v22, v98, v86
	v_add_f16_e32 v26, v115, v72
	;; [unrolled: 1-line block ×3, first 2 shown]
	v_fmac_f16_e32 v113, -0.5, v16
	v_add_f16_e32 v16, v80, v82
	v_sub_f16_e32 v31, v80, v82
	v_add_f16_e32 v68, v85, v84
	v_add_f16_e32 v27, v72, v79
	;; [unrolled: 1-line block ×3, first 2 shown]
	v_sub_f16_e32 v28, v72, v79
	v_fmac_f16_e32 v114, -0.5, v22
	v_add_f16_e32 v22, v26, v79
	v_add_f16_e32 v79, v102, v103
	v_sub_f16_e32 v20, v81, v83
	v_sub_f16_e32 v23, v98, v86
	v_add_f16_e32 v29, v71, v80
	v_add_f16_e32 v72, v70, v85
	v_sub_f16_e32 v26, v85, v84
	v_fmac_f16_e32 v71, -0.5, v16
	v_fmamk_f16 v16, v31, 0x3aee, v113
	v_fmac_f16_e32 v113, 0xbaee, v31
	v_fma_f16 v31, -0.5, v68, v70
	v_fmac_f16_e32 v115, -0.5, v27
	v_add_f16_e32 v27, v30, v102
	v_sub_f16_e32 v80, v102, v103
	v_fmac_f16_e32 v30, -0.5, v79
	v_add_f16_e32 v21, v21, v86
	v_add_f16_e32 v68, v72, v84
	v_fmamk_f16 v70, v26, 0x3aee, v114
	v_fmamk_f16 v72, v20, 0xbaee, v71
	v_fmac_f16_e32 v71, 0x3aee, v20
	v_fmamk_f16 v20, v23, 0xbaee, v31
	v_fmac_f16_e32 v114, 0xbaee, v26
	v_add_f16_e32 v27, v27, v103
	v_fmac_f16_e32 v31, 0x3aee, v23
	v_add_f16_e32 v17, v17, v83
	v_add_f16_e32 v26, v29, v82
	v_fmamk_f16 v29, v80, 0x3aee, v115
	v_fmamk_f16 v23, v28, 0xbaee, v30
	v_fmac_f16_e32 v115, 0xbaee, v80
	v_fmac_f16_e32 v30, 0x3aee, v28
	v_pack_b32_f16 v21, v68, v21
	v_pack_b32_f16 v20, v20, v70
	;; [unrolled: 1-line block ×9, first 2 shown]
	ds_store_2addr_b32 v88, v21, v20 offset1:9
	ds_store_b32 v88, v27 offset:72
	ds_store_2addr_b32 v89, v17, v16 offset1:9
	ds_store_b32 v89, v26 offset:72
	;; [unrolled: 2-line block ×3, first 2 shown]
	global_wb scope:SCOPE_SE
	s_wait_dscnt 0x0
	s_barrier_signal -1
	s_barrier_wait -1
	global_inv scope:SCOPE_SE
	ds_load_2addr_b32 v[16:17], v58 offset0:6 offset1:249
	ds_load_2addr_b32 v[22:23], v56 offset0:2 offset1:245
	ds_load_2addr_b32 v[20:21], v42 offset1:243
	ds_load_2addr_b32 v[26:27], v55 offset0:12 offset1:255
	ds_load_b32 v30, v42 offset:7776
	global_wb scope:SCOPE_SE
	s_wait_dscnt 0x0
	s_barrier_signal -1
	s_barrier_wait -1
	global_inv scope:SCOPE_SE
	v_mad_co_u64_u32 v[28:29], null, s6, v1, 0
	v_lshrrev_b32_e32 v31, 16, v17
	v_mul_f16_e32 v68, v77, v17
	v_lshrrev_b32_e32 v70, 16, v22
	v_lshrrev_b32_e32 v71, 16, v23
	v_mul_f16_e32 v72, v78, v22
	v_lshrrev_b32_e32 v80, 16, v26
	v_mul_f16_e32 v81, v75, v26
	v_lshrrev_b32_e32 v83, 16, v27
	v_lshrrev_b32_e32 v85, 16, v30
	v_mul_f16_e32 v82, v76, v23
	v_mul_f16_e32 v84, v74, v27
	;; [unrolled: 1-line block ×4, first 2 shown]
	v_fma_f16 v31, v6, v31, -v68
	v_mul_f16_e32 v68, v78, v70
	v_fma_f16 v70, v7, v70, -v72
	v_mul_f16_e32 v72, v76, v71
	v_mul_f16_e32 v75, v75, v80
	v_lshrrev_b32_e32 v88, 16, v21
	v_fma_f16 v76, v4, v80, -v81
	v_mul_f16_e32 v74, v74, v83
	v_mul_f16_e32 v73, v73, v85
	v_lshrrev_b32_e32 v79, 16, v20
	v_fma_f16 v71, v5, v71, -v82
	v_fma_f16 v78, v2, v83, -v84
	;; [unrolled: 1-line block ×3, first 2 shown]
	v_fmac_f16_e32 v77, v6, v17
	v_fmac_f16_e32 v68, v7, v22
	;; [unrolled: 1-line block ×6, first 2 shown]
	v_add_f16_e32 v6, v88, v76
	v_lshrrev_b32_e32 v89, 16, v16
	v_add_f16_e32 v3, v79, v31
	v_add_f16_e32 v4, v31, v70
	;; [unrolled: 1-line block ×5, first 2 shown]
	v_sub_f16_e32 v2, v31, v70
	v_add_f16_e32 v31, v75, v72
	v_sub_f16_e32 v5, v76, v71
	v_add_f16_e32 v6, v6, v71
	v_add_f16_e32 v71, v74, v73
	;; [unrolled: 1-line block ×5, first 2 shown]
	v_fmac_f16_e32 v79, -0.5, v4
	v_sub_f16_e32 v4, v77, v68
	v_add_f16_e32 v30, v21, v75
	v_fmac_f16_e32 v88, -0.5, v7
	v_sub_f16_e32 v7, v75, v72
	v_add_f16_e32 v70, v16, v74
	v_fmac_f16_e32 v89, -0.5, v23
	v_sub_f16_e32 v23, v74, v73
	v_fma_f16 v20, -0.5, v27, v20
	v_fmac_f16_e32 v21, -0.5, v31
	v_sub_f16_e32 v17, v78, v80
	v_fmac_f16_e32 v16, -0.5, v71
	v_add_f16_e32 v22, v22, v80
	v_add_f16_e32 v26, v26, v68
	v_fmamk_f16 v27, v4, 0x3aee, v79
	v_fmac_f16_e32 v79, 0xbaee, v4
	v_add_f16_e32 v4, v30, v72
	v_fmamk_f16 v30, v7, 0x3aee, v88
	v_fmac_f16_e32 v88, 0xbaee, v7
	v_add_f16_e32 v7, v70, v73
	v_fmamk_f16 v31, v23, 0x3aee, v89
	v_fmac_f16_e32 v89, 0xbaee, v23
	v_fmamk_f16 v23, v2, 0xbaee, v20
	v_fmac_f16_e32 v20, 0x3aee, v2
	v_fmamk_f16 v2, v5, 0xbaee, v21
	v_fmac_f16_e32 v21, 0x3aee, v5
	;; [unrolled: 2-line block ×3, first 2 shown]
	v_pack_b32_f16 v3, v26, v3
	v_pack_b32_f16 v4, v4, v6
	;; [unrolled: 1-line block ×9, first 2 shown]
	ds_store_2addr_b32 v65, v3, v7 offset1:27
	ds_store_b32 v65, v17 offset:216
	ds_store_2addr_b32 v67, v4, v2 offset1:27
	ds_store_b32 v67, v20 offset:216
	ds_store_2addr_b32 v66, v6, v5 offset1:27
	ds_store_b32 v66, v16 offset:216
	global_wb scope:SCOPE_SE
	s_wait_dscnt 0x0
	s_barrier_signal -1
	s_barrier_wait -1
	global_inv scope:SCOPE_SE
	ds_load_2addr_b32 v[4:5], v42 offset1:243
	ds_load_2addr_b32 v[6:7], v58 offset0:6 offset1:249
	ds_load_2addr_b32 v[16:17], v56 offset0:2 offset1:245
	;; [unrolled: 1-line block ×3, first 2 shown]
	ds_load_b32 v26, v42 offset:7776
	v_mov_b32_e32 v22, v29
	global_wb scope:SCOPE_SE
	s_wait_dscnt 0x0
	s_barrier_signal -1
	s_barrier_wait -1
	global_inv scope:SCOPE_SE
	v_mad_co_u64_u32 v[22:23], null, s7, v1, v[22:23]
	v_mad_co_u64_u32 v[2:3], null, s4, v0, 0
	v_lshrrev_b32_e32 v1, 16, v4
	v_lshrrev_b32_e32 v23, 16, v7
	;; [unrolled: 1-line block ×3, first 2 shown]
	v_mul_f16_e32 v68, v109, v7
	v_lshrrev_b32_e32 v30, 16, v20
	v_lshrrev_b32_e32 v31, 16, v17
	v_mul_f16_e32 v70, v108, v16
	v_mul_f16_e32 v71, v106, v20
	v_lshrrev_b32_e32 v66, 16, v21
	v_lshrrev_b32_e32 v67, 16, v26
	v_mul_f16_e32 v72, v107, v17
	v_mul_f16_e32 v73, v105, v21
	;; [unrolled: 1-line block ×4, first 2 shown]
	v_fma_f16 v23, v24, v23, -v68
	v_mul_f16_e32 v68, v108, v27
	v_fma_f16 v27, v25, v27, -v70
	v_mul_f16_e32 v70, v106, v30
	;; [unrolled: 2-line block ×5, first 2 shown]
	v_fma_f16 v67, v15, v67, -v74
	v_fmac_f16_e32 v75, v24, v7
	v_fmac_f16_e32 v68, v25, v16
	;; [unrolled: 1-line block ×4, first 2 shown]
	v_lshrrev_b32_e32 v29, 16, v5
	v_fmac_f16_e32 v72, v14, v21
	v_fmac_f16_e32 v73, v15, v26
	v_lshrrev_b32_e32 v65, 16, v6
	v_add_f16_e32 v14, v1, v23
	v_add_f16_e32 v15, v23, v27
	;; [unrolled: 1-line block ×6, first 2 shown]
	v_sub_f16_e32 v16, v30, v31
	v_add_f16_e32 v17, v29, v30
	v_add_f16_e32 v30, v72, v73
	v_sub_f16_e32 v7, v23, v27
	v_add_f16_e32 v20, v65, v66
	v_add_f16_e32 v23, v4, v75
	;; [unrolled: 1-line block ×3, first 2 shown]
	v_fmac_f16_e32 v1, -0.5, v15
	v_sub_f16_e32 v15, v75, v68
	v_add_f16_e32 v25, v5, v70
	v_fmac_f16_e32 v29, -0.5, v18
	v_sub_f16_e32 v18, v70, v71
	v_add_f16_e32 v27, v6, v72
	v_fmac_f16_e32 v65, -0.5, v21
	v_sub_f16_e32 v21, v72, v73
	v_fma_f16 v4, -0.5, v24, v4
	v_fmac_f16_e32 v5, -0.5, v26
	v_sub_f16_e32 v19, v66, v67
	v_fmac_f16_e32 v6, -0.5, v30
	v_add_f16_e32 v17, v17, v31
	v_add_f16_e32 v20, v20, v67
	v_add_f16_e32 v23, v23, v68
	v_fmamk_f16 v24, v15, 0x3aee, v1
	v_fmac_f16_e32 v1, 0xbaee, v15
	v_add_f16_e32 v15, v25, v71
	v_fmamk_f16 v25, v18, 0x3aee, v29
	v_fmac_f16_e32 v29, 0xbaee, v18
	v_add_f16_e32 v18, v27, v73
	v_fmamk_f16 v26, v21, 0x3aee, v65
	v_fmac_f16_e32 v65, 0xbaee, v21
	v_fmamk_f16 v21, v7, 0xbaee, v4
	v_fmac_f16_e32 v4, 0x3aee, v7
	;; [unrolled: 2-line block ×4, first 2 shown]
	v_pack_b32_f16 v14, v23, v14
	v_pack_b32_f16 v15, v15, v17
	;; [unrolled: 1-line block ×9, first 2 shown]
	ds_store_2addr_b32 v97, v14, v18 offset1:81
	ds_store_b32 v97, v1 offset:648
	ds_store_2addr_b32 v96, v15, v4 offset1:81
	ds_store_b32 v96, v5 offset:648
	;; [unrolled: 2-line block ×3, first 2 shown]
	global_wb scope:SCOPE_SE
	s_wait_dscnt 0x0
	s_barrier_signal -1
	s_barrier_wait -1
	global_inv scope:SCOPE_SE
	ds_load_2addr_b32 v[4:5], v42 offset1:243
	ds_load_2addr_b32 v[6:7], v58 offset0:6 offset1:249
	ds_load_2addr_b32 v[14:15], v56 offset0:2 offset1:245
	ds_load_2addr_b32 v[16:17], v55 offset0:12 offset1:255
	ds_load_b32 v18, v42 offset:7776
	v_mov_b32_e32 v29, v22
	global_wb scope:SCOPE_SE
	s_wait_dscnt 0x0
	s_barrier_signal -1
	s_barrier_wait -1
	global_inv scope:SCOPE_SE
	v_mad_co_u64_u32 v[0:1], null, s5, v0, v[3:4]
	v_lshrrev_b32_e32 v20, 16, v7
	v_lshrrev_b32_e32 v21, 16, v14
	;; [unrolled: 1-line block ×4, first 2 shown]
	v_mul_f16_e32 v30, v94, v16
	v_lshrrev_b32_e32 v26, 16, v17
	v_mov_b32_e32 v3, v0
	v_lshlrev_b64_e32 v[0:1], 2, v[28:29]
	v_mul_f16_e32 v28, v94, v7
	v_mul_f16_e32 v29, v93, v14
	v_lshrrev_b32_e32 v27, 16, v18
	v_mul_f16_e32 v31, v93, v15
	v_mul_f16_e32 v65, v92, v17
	;; [unrolled: 1-line block ×4, first 2 shown]
	v_fma_f16 v20, v34, v20, -v28
	v_mul_f16_e32 v28, v93, v21
	v_fma_f16 v21, v35, v21, -v29
	v_mul_f16_e32 v29, v94, v23
	;; [unrolled: 2-line block ×3, first 2 shown]
	v_lshrrev_b32_e32 v19, 16, v4
	v_fma_f16 v24, v35, v24, -v31
	v_mul_f16_e32 v31, v92, v26
	v_fma_f16 v26, v32, v26, -v65
	v_mul_f16_e32 v65, v91, v27
	v_lshrrev_b32_e32 v22, 16, v5
	v_lshrrev_b32_e32 v25, 16, v6
	v_fma_f16 v27, v33, v27, -v66
	v_fmac_f16_e32 v67, v34, v7
	v_fmac_f16_e32 v28, v35, v14
	;; [unrolled: 1-line block ×6, first 2 shown]
	v_add_f16_e32 v14, v19, v20
	v_add_f16_e32 v18, v23, v24
	v_sub_f16_e32 v7, v20, v21
	v_add_f16_e32 v15, v20, v21
	v_sub_f16_e32 v16, v23, v24
	v_add_f16_e32 v17, v22, v23
	v_sub_f16_e32 v20, v26, v27
	v_add_f16_e32 v23, v25, v26
	v_add_f16_e32 v26, v26, v27
	;; [unrolled: 1-line block ×6, first 2 shown]
	v_fmac_f16_e32 v22, -0.5, v18
	v_sub_f16_e32 v18, v29, v30
	v_add_f16_e32 v29, v31, v65
	v_add_f16_e32 v32, v4, v67
	v_fmac_f16_e32 v19, -0.5, v15
	v_sub_f16_e32 v15, v67, v28
	v_add_f16_e32 v17, v17, v24
	v_add_f16_e32 v24, v6, v31
	v_fmac_f16_e32 v25, -0.5, v26
	v_sub_f16_e32 v26, v31, v65
	v_fma_f16 v4, -0.5, v33, v4
	v_fmac_f16_e32 v5, -0.5, v34
	v_fmac_f16_e32 v6, -0.5, v29
	v_add_f16_e32 v23, v23, v27
	v_add_f16_e32 v27, v32, v28
	v_fmamk_f16 v28, v15, 0x3aee, v19
	v_fmac_f16_e32 v19, 0xbaee, v15
	v_add_f16_e32 v15, v21, v30
	v_fmamk_f16 v21, v18, 0x3aee, v22
	v_fmac_f16_e32 v22, 0xbaee, v18
	;; [unrolled: 3-line block ×3, first 2 shown]
	v_fmamk_f16 v26, v7, 0xbaee, v4
	v_fmac_f16_e32 v4, 0x3aee, v7
	v_fmamk_f16 v7, v16, 0xbaee, v5
	v_fmac_f16_e32 v5, 0x3aee, v16
	;; [unrolled: 2-line block ×3, first 2 shown]
	v_pack_b32_f16 v14, v27, v14
	v_pack_b32_f16 v15, v15, v17
	;; [unrolled: 1-line block ×9, first 2 shown]
	ds_store_2addr_b32 v42, v14, v18 offset1:243
	ds_store_2addr_b32 v58, v4, v15 offset0:6 offset1:249
	ds_store_2addr_b32 v55, v7, v5 offset0:12 offset1:255
	;; [unrolled: 1-line block ×3, first 2 shown]
	ds_store_b32 v69, v6 offset:7776
	global_wb scope:SCOPE_SE
	s_wait_dscnt 0x0
	s_barrier_signal -1
	s_barrier_wait -1
	global_inv scope:SCOPE_SE
	ds_load_2addr_b32 v[6:7], v42 offset1:243
	ds_load_2addr_b32 v[4:5], v58 offset0:6 offset1:249
	ds_load_2addr_b32 v[14:15], v56 offset0:2 offset1:245
	;; [unrolled: 1-line block ×3, first 2 shown]
	ds_load_b32 v18, v42 offset:7776
	v_lshlrev_b64_e32 v[2:3], 2, v[2:3]
	v_add_co_u32 v0, vcc_lo, s0, v0
	s_wait_alu 0xfffd
	v_add_co_ci_u32_e32 v1, vcc_lo, s1, v1, vcc_lo
	s_mul_u64 s[0:1], s[4:5], 0xb64
	s_delay_alu instid0(VALU_DEP_2) | instskip(SKIP_1) | instid1(VALU_DEP_2)
	v_add_co_u32 v0, vcc_lo, v0, v2
	s_wait_alu 0xfffd
	v_add_co_ci_u32_e32 v1, vcc_lo, v1, v3, vcc_lo
	s_wait_alu 0xfffe
	s_sub_co_i32 s5, s2, s4
	v_add_co_u32 v2, vcc_lo, v0, s0
	s_wait_alu 0xfffd
	v_add_co_ci_u32_e32 v3, vcc_lo, s1, v1, vcc_lo
	s_mov_b32 s2, 0xf17de4db
	s_wait_dscnt 0x4
	v_lshrrev_b32_e32 v19, 16, v6
	s_wait_dscnt 0x3
	v_lshrrev_b32_e32 v20, 16, v5
	;; [unrolled: 2-line block ×3, first 2 shown]
	v_mul_f16_e32 v28, v63, v5
	s_wait_dscnt 0x1
	v_lshrrev_b32_e32 v23, 16, v16
	v_lshrrev_b32_e32 v24, 16, v15
	;; [unrolled: 1-line block ×3, first 2 shown]
	s_wait_dscnt 0x0
	v_lshrrev_b32_e32 v27, 16, v18
	v_mul_f16_e32 v29, v64, v14
	v_mul_f16_e32 v30, v61, v16
	;; [unrolled: 1-line block ×6, first 2 shown]
	v_fma_f16 v20, v12, v20, -v28
	v_mul_f16_e32 v28, v64, v21
	v_fma_f16 v21, v13, v21, -v29
	v_mul_f16_e32 v29, v61, v23
	;; [unrolled: 2-line block ×5, first 2 shown]
	v_fma_f16 v27, v9, v27, -v33
	v_fmac_f16_e32 v34, v12, v5
	v_fmac_f16_e32 v28, v13, v14
	v_lshrrev_b32_e32 v22, 16, v7
	v_fmac_f16_e32 v29, v10, v16
	v_fmac_f16_e32 v30, v11, v15
	;; [unrolled: 1-line block ×4, first 2 shown]
	v_lshrrev_b32_e32 v25, 16, v4
	v_add_f16_e32 v8, v19, v20
	v_add_f16_e32 v9, v20, v21
	;; [unrolled: 1-line block ×5, first 2 shown]
	v_sub_f16_e32 v5, v20, v21
	v_sub_f16_e32 v10, v23, v24
	v_add_f16_e32 v11, v22, v23
	v_add_f16_e32 v20, v29, v30
	;; [unrolled: 1-line block ×6, first 2 shown]
	v_fmac_f16_e32 v19, -0.5, v9
	v_sub_f16_e32 v9, v34, v28
	v_add_f16_e32 v18, v7, v29
	v_fmac_f16_e32 v22, -0.5, v12
	v_sub_f16_e32 v12, v29, v30
	v_add_f16_e32 v21, v4, v31
	v_fmac_f16_e32 v25, -0.5, v15
	v_sub_f16_e32 v15, v31, v32
	v_fma_f16 v6, -0.5, v17, v6
	v_sub_f16_e32 v13, v26, v27
	v_fmac_f16_e32 v7, -0.5, v20
	v_fmac_f16_e32 v4, -0.5, v23
	v_add_f16_e32 v11, v11, v24
	v_add_f16_e32 v14, v14, v27
	v_fmamk_f16 v17, v9, 0x3aee, v19
	v_fmac_f16_e32 v19, 0xbaee, v9
	v_add_f16_e32 v9, v18, v30
	v_fmamk_f16 v18, v12, 0x3aee, v22
	v_fmac_f16_e32 v22, 0xbaee, v12
	;; [unrolled: 3-line block ×3, first 2 shown]
	v_fmamk_f16 v15, v5, 0xbaee, v6
	v_fmac_f16_e32 v6, 0x3aee, v5
	v_add_f16_e32 v16, v16, v28
	v_fmamk_f16 v5, v10, 0xbaee, v7
	v_fmac_f16_e32 v7, 0x3aee, v10
	v_fmamk_f16 v10, v13, 0xbaee, v4
	v_fmac_f16_e32 v4, 0x3aee, v13
	v_pack_b32_f16 v9, v9, v11
	v_pack_b32_f16 v11, v12, v14
	;; [unrolled: 1-line block ×9, first 2 shown]
	ds_store_b32 v42, v12 offset:2916
	ds_store_b32 v42, v6 offset:5832
	ds_store_2addr_b32 v42, v8, v9 offset1:243
	ds_store_b32 v42, v11 offset:1944
	ds_store_2addr_b32 v55, v5, v10 offset0:12 offset1:255
	ds_store_2addr_b32 v57, v7, v4 offset0:5 offset1:248
	global_wb scope:SCOPE_SE
	s_wait_dscnt 0x0
	s_barrier_signal -1
	s_barrier_wait -1
	global_inv scope:SCOPE_SE
	ds_load_2addr_b32 v[10:11], v42 offset1:243
	ds_load_2addr_b32 v[12:13], v58 offset0:6 offset1:249
	ds_load_2addr_b32 v[14:15], v56 offset0:2 offset1:245
	;; [unrolled: 1-line block ×3, first 2 shown]
	ds_load_b32 v18, v42 offset:7776
	v_add_co_u32 v4, vcc_lo, v2, s0
	s_wait_alu 0xfffd
	v_add_co_ci_u32_e32 v5, vcc_lo, s1, v3, vcc_lo
	s_mov_b32 s3, 0x3f3df3d4
	s_delay_alu instid0(VALU_DEP_1) | instskip(SKIP_1) | instid1(VALU_DEP_1)
	v_mad_co_u64_u32 v[6:7], null, 0xffffed04, s4, v[4:5]
	s_wait_alu 0xfffe
	v_add_nc_u32_e32 v7, s5, v7
	s_wait_dscnt 0x4
	v_lshrrev_b32_e32 v19, 16, v10
	v_mul_f16_e32 v20, v54, v10
	s_wait_dscnt 0x3
	v_lshrrev_b32_e32 v21, 16, v13
	v_mul_f16_e32 v22, v53, v13
	s_wait_dscnt 0x2
	v_lshrrev_b32_e32 v23, 16, v14
	v_mul_f16_e32 v24, v52, v14
	v_lshrrev_b32_e32 v25, 16, v11
	v_mul_f16_e32 v26, v51, v11
	s_wait_dscnt 0x1
	v_lshrrev_b32_e32 v27, 16, v16
	v_mul_f16_e32 v28, v50, v16
	v_lshrrev_b32_e32 v29, 16, v15
	v_mul_f16_e32 v30, v48, v15
	;; [unrolled: 2-line block ×4, first 2 shown]
	s_wait_dscnt 0x0
	v_lshrrev_b32_e32 v35, 16, v18
	v_mul_f16_e32 v42, v47, v18
	v_mul_f16_e32 v54, v54, v19
	v_fma_f16 v19, v37, v19, -v20
	v_mul_f16_e32 v53, v53, v21
	v_fma_f16 v20, v38, v21, -v22
	;; [unrolled: 2-line block ×6, first 2 shown]
	v_fma_f16 v30, v44, v31, -v32
	v_fma_f16 v32, v43, v33, -v34
	;; [unrolled: 1-line block ×3, first 2 shown]
	v_fmac_f16_e32 v54, v37, v10
	v_cvt_f32_f16_e32 v10, v19
	v_mul_f16_e32 v29, v46, v31
	v_fmac_f16_e32 v53, v38, v13
	v_cvt_f32_f16_e32 v13, v20
	v_fmac_f16_e32 v23, v36, v11
	v_cvt_f64_f32_e32 v[10:11], v10
	v_cvt_f32_f16_e32 v20, v24
	v_fmac_f16_e32 v27, v40, v15
	v_cvt_f32_f16_e32 v24, v28
	v_cvt_f32_f16_e32 v28, v34
	v_mul_f16_e32 v31, v49, v33
	v_mul_f16_e32 v33, v47, v35
	v_fmac_f16_e32 v21, v41, v14
	v_cvt_f32_f16_e32 v19, v22
	v_fmac_f16_e32 v25, v39, v16
	v_cvt_f64_f32_e32 v[13:14], v13
	v_fmac_f16_e32 v29, v44, v12
	v_cvt_f32_f16_e32 v12, v30
	v_cvt_f32_f16_e32 v30, v54
	;; [unrolled: 1-line block ×4, first 2 shown]
	v_cvt_f64_f32_e32 v[27:28], v28
	v_cvt_f64_f32_e32 v[15:16], v19
	v_cvt_f32_f16_e32 v41, v29
	v_cvt_f64_f32_e32 v[29:30], v30
	v_cvt_f64_f32_e32 v[35:36], v35
	v_cvt_f32_f16_e32 v22, v26
	v_fmac_f16_e32 v31, v43, v17
	v_fmac_f16_e32 v33, v45, v18
	v_cvt_f64_f32_e32 v[17:18], v20
	v_cvt_f32_f16_e32 v34, v21
	v_cvt_f64_f32_e32 v[19:20], v22
	v_cvt_f64_f32_e32 v[21:22], v24
	v_cvt_f32_f16_e32 v26, v32
	v_cvt_f64_f32_e32 v[23:24], v12
	v_cvt_f32_f16_e32 v12, v31
	v_cvt_f32_f16_e32 v45, v33
	;; [unrolled: 1-line block ×3, first 2 shown]
	v_cvt_f64_f32_e32 v[25:26], v26
	v_cvt_f32_f16_e32 v32, v53
	v_cvt_f64_f32_e32 v[43:44], v12
	v_cvt_f64_f32_e32 v[45:46], v45
	v_add_co_u32 v8, vcc_lo, v6, s0
	v_mul_f64_e32 v[47:48], s[2:3], v[10:11]
	v_cvt_f64_f32_e32 v[31:32], v32
	s_wait_alu 0xfffd
	v_add_co_ci_u32_e32 v9, vcc_lo, s1, v7, vcc_lo
	v_cvt_f64_f32_e32 v[33:34], v34
	v_add_co_u32 v10, vcc_lo, v8, s0
	s_wait_alu 0xfffd
	s_delay_alu instid0(VALU_DEP_3) | instskip(SKIP_3) | instid1(VALU_DEP_4)
	v_add_co_ci_u32_e32 v11, vcc_lo, s1, v9, vcc_lo
	v_mul_f64_e32 v[49:50], s[2:3], v[13:14]
	v_cvt_f64_f32_e32 v[37:38], v37
	v_cvt_f64_f32_e32 v[39:40], v39
	v_mad_co_u64_u32 v[12:13], null, 0xffffed04, s4, v[10:11]
	v_cvt_f64_f32_e32 v[41:42], v41
	v_mul_f64_e32 v[27:28], s[2:3], v[27:28]
	v_mul_f64_e32 v[51:52], s[2:3], v[15:16]
	;; [unrolled: 1-line block ×4, first 2 shown]
	v_add_nc_u32_e32 v13, s5, v13
	v_add_co_u32 v14, vcc_lo, v12, s0
	v_mul_f64_e32 v[53:54], s[2:3], v[17:18]
	v_mul_f64_e32 v[55:56], s[2:3], v[19:20]
	v_mul_f64_e32 v[57:58], s[2:3], v[21:22]
	s_wait_alu 0xfffd
	v_add_co_ci_u32_e32 v15, vcc_lo, s1, v13, vcc_lo
	v_mul_f64_e32 v[59:60], s[2:3], v[23:24]
	v_add_co_u32 v16, vcc_lo, v14, s0
	v_mul_f64_e32 v[25:26], s[2:3], v[25:26]
	s_wait_alu 0xfffd
	v_add_co_ci_u32_e32 v17, vcc_lo, s1, v15, vcc_lo
	v_mul_f64_e32 v[61:62], s[2:3], v[43:44]
	v_mul_f64_e32 v[44:45], s[2:3], v[45:46]
	v_and_or_b32 v46, 0x1ff, v48, v47
	v_mul_f64_e32 v[31:32], s[2:3], v[31:32]
	v_lshrrev_b32_e32 v66, 8, v48
	v_bfe_u32 v43, v48, 20, 11
	v_mul_f64_e32 v[33:34], s[2:3], v[33:34]
	v_cmp_ne_u32_e32 vcc_lo, 0, v46
	v_lshrrev_b32_e32 v18, 16, v48
	s_delay_alu instid0(VALU_DEP_4)
	v_sub_nc_u32_e32 v79, 0x3f1, v43
	v_and_or_b32 v47, 0x1ff, v50, v49
	v_mul_f64_e32 v[37:38], s[2:3], v[37:38]
	v_mul_f64_e32 v[39:40], s[2:3], v[39:40]
	v_lshrrev_b32_e32 v67, 8, v50
	v_bfe_u32 v48, v50, 20, 11
	v_mul_f64_e32 v[41:42], s[2:3], v[41:42]
	v_bfe_u32 v76, v28, 20, 11
	v_and_or_b32 v49, 0x1ff, v52, v51
	v_and_or_b32 v74, 0x1ff, v28, v27
	;; [unrolled: 1-line block ×3, first 2 shown]
	v_lshrrev_b32_e32 v63, 8, v30
	v_bfe_u32 v78, v30, 20, 11
	v_lshrrev_b32_e32 v27, 16, v30
	v_and_or_b32 v86, 0x1ff, v36, v35
	v_lshrrev_b32_e32 v87, 8, v36
	v_bfe_u32 v88, v36, 20, 11
	v_lshrrev_b32_e32 v30, 16, v36
	v_sub_nc_u32_e32 v108, 0x3f1, v76
	v_add_nc_u32_e32 v36, 0xfffffc10, v76
	s_wait_alu 0xfffd
	v_cndmask_b32_e64 v76, 0, 1, vcc_lo
	v_cmp_ne_u32_e32 vcc_lo, 0, v47
	v_and_or_b32 v51, 0x1ff, v54, v53
	v_and_or_b32 v53, 0x1ff, v56, v55
	v_and_or_b32 v55, 0x1ff, v58, v57
	v_and_or_b32 v57, 0x1ff, v60, v59
	s_wait_alu 0xfffd
	v_cndmask_b32_e64 v109, 0, 1, vcc_lo
	v_cmp_ne_u32_e32 vcc_lo, 0, v49
	v_and_or_b32 v59, 0x1ff, v26, v25
	v_lshrrev_b32_e32 v75, 8, v28
	v_and_or_b32 v66, 0xffe, v66, v76
	v_and_or_b32 v80, 0x1ff, v32, v31
	s_wait_alu 0xfffd
	v_cndmask_b32_e64 v110, 0, 1, vcc_lo
	v_cmp_ne_u32_e32 vcc_lo, 0, v51
	v_and_or_b32 v83, 0x1ff, v34, v33
	v_lshrrev_b32_e32 v19, 16, v50
	v_lshrrev_b32_e32 v68, 8, v52
	v_bfe_u32 v50, v52, 20, 11
	s_wait_alu 0xfffd
	v_cndmask_b32_e64 v111, 0, 1, vcc_lo
	v_cmp_ne_u32_e32 vcc_lo, 0, v53
	v_lshrrev_b32_e32 v20, 16, v52
	v_lshrrev_b32_e32 v69, 8, v54
	v_bfe_u32 v52, v54, 20, 11
	v_lshrrev_b32_e32 v21, 16, v54
	s_wait_alu 0xfffd
	v_cndmask_b32_e64 v112, 0, 1, vcc_lo
	v_cmp_ne_u32_e32 vcc_lo, 0, v55
	v_bfe_u32 v54, v56, 20, 11
	v_and_or_b32 v90, 0x1ff, v38, v37
	v_lshrrev_b32_e32 v70, 8, v56
	v_lshrrev_b32_e32 v22, 16, v56
	s_wait_alu 0xfffd
	v_cndmask_b32_e64 v113, 0, 1, vcc_lo
	v_cmp_ne_u32_e32 vcc_lo, 0, v57
	v_lshrrev_b32_e32 v71, 8, v58
	v_bfe_u32 v56, v58, 20, 11
	v_lshrrev_b32_e32 v23, 16, v58
	v_lshrrev_b32_e32 v72, 8, v60
	s_wait_alu 0xfffd
	v_cndmask_b32_e64 v114, 0, 1, vcc_lo
	v_cmp_ne_u32_e32 vcc_lo, 0, v59
	v_bfe_u32 v58, v60, 20, 11
	v_lshrrev_b32_e32 v24, 16, v60
	v_lshrrev_b32_e32 v73, 8, v26
	v_bfe_u32 v60, v26, 20, 11
	s_wait_alu 0xfffd
	v_cndmask_b32_e64 v115, 0, 1, vcc_lo
	v_cmp_ne_u32_e32 vcc_lo, 0, v74
	v_lshrrev_b32_e32 v25, 16, v26
	v_lshrrev_b32_e32 v26, 16, v28
	;; [unrolled: 1-line block ×3, first 2 shown]
	v_bfe_u32 v81, v32, 20, 11
	s_wait_alu 0xfffd
	v_cndmask_b32_e64 v74, 0, 1, vcc_lo
	v_cmp_ne_u32_e32 vcc_lo, 0, v77
	v_lshrrev_b32_e32 v28, 16, v32
	v_sub_nc_u32_e32 v93, 0x3f1, v54
	v_and_or_b32 v94, 0x1ff, v40, v39
	v_and_or_b32 v74, 0xffe, v75, v74
	s_wait_alu 0xfffd
	v_cndmask_b32_e64 v76, 0, 1, vcc_lo
	v_cmp_ne_u32_e32 vcc_lo, 0, v80
	v_lshrrev_b32_e32 v95, 8, v40
	v_bfe_u32 v96, v40, 20, 11
	v_lshrrev_b32_e32 v32, 16, v40
	v_add_nc_u32_e32 v40, 0xfffffc10, v54
	s_wait_alu 0xfffd
	v_cndmask_b32_e64 v75, 0, 1, vcc_lo
	v_cmp_ne_u32_e32 vcc_lo, 0, v83
	v_med3_i32 v54, v79, 0, 13
	v_sub_nc_u32_e32 v79, 0x3f1, v78
	v_add_nc_u32_e32 v49, 0xfffffc10, v78
	v_sub_nc_u32_e32 v82, 0x3f1, v48
	s_wait_alu 0xfffd
	v_cndmask_b32_e64 v77, 0, 1, vcc_lo
	v_cmp_ne_u32_e32 vcc_lo, 0, v86
	v_and_or_b32 v98, 0x1ff, v42, v41
	v_sub_nc_u32_e32 v85, 0x3f1, v50
	v_lshrrev_b32_e32 v99, 8, v42
	v_bfe_u32 v100, v42, 20, 11
	s_wait_alu 0xfffd
	v_cndmask_b32_e64 v78, 0, 1, vcc_lo
	v_cmp_ne_u32_e32 vcc_lo, 0, v90
	v_and_or_b32 v102, 0x1ff, v62, v61
	v_lshrrev_b32_e32 v33, 16, v42
	v_add_nc_u32_e32 v42, 0xfffffc10, v50
	v_med3_i32 v55, v82, 0, 13
	s_wait_alu 0xfffd
	v_cndmask_b32_e64 v80, 0, 1, vcc_lo
	v_cmp_ne_u32_e32 vcc_lo, 0, v94
	v_sub_nc_u32_e32 v82, 0x3f1, v81
	v_add_nc_u32_e32 v50, 0xfffffc10, v81
	v_bfe_u32 v84, v34, 20, 11
	v_and_or_b32 v105, 0x1ff, v45, v44
	s_wait_alu 0xfffd
	v_cndmask_b32_e64 v81, 0, 1, vcc_lo
	v_cmp_ne_u32_e32 vcc_lo, 0, v98
	v_sub_nc_u32_e32 v97, 0x3f1, v56
	v_lshrrev_b32_e32 v106, 8, v45
	v_bfe_u32 v107, v45, 20, 11
	v_add_nc_u32_e32 v39, 0xfffffc10, v56
	s_wait_alu 0xfffd
	v_cndmask_b32_e64 v83, 0, 1, vcc_lo
	v_cmp_ne_u32_e32 vcc_lo, 0, v102
	v_lshrrev_b32_e32 v35, 16, v45
	v_med3_i32 v56, v85, 0, 13
	v_sub_nc_u32_e32 v85, 0x3f1, v84
	v_add_nc_u32_e32 v45, 0xfffffc10, v84
	s_wait_alu 0xfffd
	v_cndmask_b32_e64 v84, 0, 1, vcc_lo
	v_cmp_ne_u32_e32 vcc_lo, 0, v105
	v_add_nc_u32_e32 v44, 0xfffffc10, v43
	v_and_or_b32 v67, 0xffe, v67, v109
	v_sub_nc_u32_e32 v89, 0x3f1, v52
	v_lshrrev_b32_e32 v91, 8, v38
	s_wait_alu 0xfffd
	v_cndmask_b32_e64 v86, 0, 1, vcc_lo
	v_cmp_ne_u32_e32 vcc_lo, 0, v66
	v_lshrrev_b32_e32 v103, 8, v62
	v_add_nc_u32_e32 v43, 0xfffffc10, v48
	v_add_nc_u32_e32 v41, 0xfffffc10, v52
	v_med3_i32 v59, v97, 0, 13
	v_sub_nc_u32_e32 v97, 0x3f1, v96
	v_add_nc_u32_e32 v52, 0xfffffc10, v96
	v_and_or_b32 v68, 0xffe, v68, v110
	v_or_b32_e32 v96, 0x1000, v66
	v_and_or_b32 v64, 0xffe, v64, v75
	v_and_or_b32 v75, 0xffe, v87, v78
	;; [unrolled: 1-line block ×3, first 2 shown]
	v_lshl_or_b32 v83, v44, 12, v66
	s_wait_alu 0xfffd
	v_cndmask_b32_e64 v66, 0, 1, vcc_lo
	v_cmp_ne_u32_e32 vcc_lo, 0, v67
	v_lshrrev_b32_e32 v65, 8, v34
	v_and_or_b32 v69, 0xffe, v69, v111
	v_med3_i32 v90, v97, 0, 13
	v_or_b32_e32 v97, 0x1000, v67
	v_and_or_b32 v63, 0xffe, v63, v76
	v_and_or_b32 v76, 0xffe, v91, v80
	;; [unrolled: 1-line block ×3, first 2 shown]
	v_lshl_or_b32 v84, v43, 12, v67
	s_wait_alu 0xfffd
	v_cndmask_b32_e64 v67, 0, 1, vcc_lo
	v_cmp_ne_u32_e32 vcc_lo, 0, v68
	v_sub_nc_u32_e32 v101, 0x3f1, v58
	v_and_or_b32 v70, 0xffe, v70, v112
	v_or_b32_e32 v98, 0x1000, v68
	v_and_or_b32 v65, 0xffe, v65, v77
	v_and_or_b32 v77, 0xffe, v95, v81
	;; [unrolled: 1-line block ×3, first 2 shown]
	v_lshl_or_b32 v86, v42, 12, v68
	s_wait_alu 0xfffd
	v_cndmask_b32_e64 v68, 0, 1, vcc_lo
	v_cmp_ne_u32_e32 vcc_lo, 0, v69
	v_bfe_u32 v92, v38, 20, 11
	v_sub_nc_u32_e32 v61, 0x3f1, v60
	v_add_nc_u32_e32 v37, 0xfffffc10, v60
	v_med3_i32 v60, v101, 0, 13
	v_sub_nc_u32_e32 v101, 0x3f1, v100
	v_add_nc_u32_e32 v47, 0xfffffc10, v100
	v_and_or_b32 v71, 0xffe, v71, v113
	v_or_b32_e32 v100, 0x1000, v69
	v_lshl_or_b32 v87, v41, 12, v69
	s_wait_alu 0xfffd
	v_cndmask_b32_e64 v69, 0, 1, vcc_lo
	v_cmp_ne_u32_e32 vcc_lo, 0, v70
	v_lshrrev_b32_e32 v31, 16, v38
	v_add_nc_u32_e32 v38, 0xfffffc10, v58
	v_med3_i32 v58, v93, 0, 13
	v_sub_nc_u32_e32 v93, 0x3f1, v92
	v_add_nc_u32_e32 v46, 0xfffffc10, v92
	v_and_or_b32 v72, 0xffe, v72, v114
	v_med3_i32 v92, v101, 0, 13
	v_or_b32_e32 v101, 0x1000, v70
	v_lshl_or_b32 v91, v40, 12, v70
	s_wait_alu 0xfffd
	v_cndmask_b32_e64 v70, 0, 1, vcc_lo
	v_cmp_ne_u32_e32 vcc_lo, 0, v71
	v_bfe_u32 v104, v62, 20, 11
	v_and_or_b32 v73, 0xffe, v73, v115
	v_or_b32_e32 v102, 0x1000, v71
	v_lshl_or_b32 v95, v39, 12, v71
	s_wait_alu 0xfffd
	v_cndmask_b32_e64 v71, 0, 1, vcc_lo
	v_cmp_ne_u32_e32 vcc_lo, 0, v72
	v_lshrrev_b32_e32 v29, 16, v34
	v_lshrrev_b32_e32 v34, 16, v62
	v_med3_i32 v62, v108, 0, 13
	v_sub_nc_u32_e32 v108, 0x3f1, v104
	v_add_nc_u32_e32 v53, 0xfffffc10, v104
	v_or_b32_e32 v104, 0x1000, v72
	v_lshl_or_b32 v99, v38, 12, v72
	s_wait_alu 0xfffd
	v_cndmask_b32_e64 v72, 0, 1, vcc_lo
	v_cmp_ne_u32_e32 vcc_lo, 0, v73
	v_or_b32_e32 v105, 0x1000, v73
	v_lshl_or_b32 v103, v37, 12, v73
	v_sub_nc_u32_e32 v116, 0x3f1, v107
	v_add_nc_u32_e32 v48, 0xfffffc10, v107
	s_wait_alu 0xfffd
	v_cndmask_b32_e64 v73, 0, 1, vcc_lo
	v_cmp_ne_u32_e32 vcc_lo, 0, v74
	v_or_b32_e32 v107, 0x1000, v74
	v_lshl_or_b32 v106, v36, 12, v74
	v_or_b32_e32 v117, 0x1000, v63
	v_lshl_or_b32 v126, v49, 12, v63
	s_wait_alu 0xfffd
	v_cndmask_b32_e64 v74, 0, 1, vcc_lo
	v_cmp_ne_u32_e32 vcc_lo, 0, v63
	v_or_b32_e32 v118, 0x1000, v64
	v_lshl_or_b32 v127, v50, 12, v64
	v_add_nc_u32_e32 v51, 0xfffffc10, v88
	v_or_b32_e32 v119, 0x1000, v65
	s_wait_alu 0xfffd
	v_cndmask_b32_e64 v63, 0, 1, vcc_lo
	v_cmp_ne_u32_e32 vcc_lo, 0, v64
	v_lshl_or_b32 v128, v45, 12, v65
	v_or_b32_e32 v120, 0x1000, v75
	v_lshl_or_b32 v129, v51, 12, v75
	v_or_b32_e32 v121, 0x1000, v76
	s_wait_alu 0xfffd
	v_cndmask_b32_e64 v64, 0, 1, vcc_lo
	v_cmp_ne_u32_e32 vcc_lo, 0, v65
	v_lshl_or_b32 v130, v46, 12, v76
	v_or_b32_e32 v122, 0x1000, v77
	v_lshl_or_b32 v131, v52, 12, v77
	v_med3_i32 v57, v89, 0, 13
	s_wait_alu 0xfffd
	v_cndmask_b32_e64 v65, 0, 1, vcc_lo
	v_cmp_ne_u32_e32 vcc_lo, 0, v75
	v_sub_nc_u32_e32 v89, 0x3f1, v88
	v_lshrrev_b32_e32 v109, v55, v97
	v_or_b32_e32 v123, 0x1000, v78
	v_lshl_or_b32 v132, v47, 12, v78
	s_wait_alu 0xfffd
	v_cndmask_b32_e64 v75, 0, 1, vcc_lo
	v_cmp_ne_u32_e32 vcc_lo, 0, v76
	v_med3_i32 v88, v89, 0, 13
	v_med3_i32 v89, v93, 0, 13
	;; [unrolled: 1-line block ×3, first 2 shown]
	v_lshrrev_b32_e32 v108, v54, v96
	s_wait_alu 0xfffd
	v_cndmask_b32_e64 v76, 0, 1, vcc_lo
	v_cmp_ne_u32_e32 vcc_lo, 0, v77
	v_lshrrev_b32_e32 v110, v56, v98
	v_or_b32_e32 v124, 0x1000, v80
	v_lshl_or_b32 v133, v53, 12, v80
	v_lshlrev_b32_e32 v55, v55, v109
	s_wait_alu 0xfffd
	v_cndmask_b32_e64 v77, 0, 1, vcc_lo
	v_cmp_ne_u32_e32 vcc_lo, 0, v78
	v_lshrrev_b32_e32 v112, v58, v101
	v_or_b32_e32 v125, 0x1000, v81
	v_lshl_or_b32 v134, v48, 12, v81
	v_lshlrev_b32_e32 v54, v54, v108
	s_wait_alu 0xfffd
	v_cndmask_b32_e64 v78, 0, 1, vcc_lo
	v_cmp_ne_u32_e32 vcc_lo, 0, v80
	v_lshlrev_b32_e32 v56, v56, v110
	v_lshrrev_b32_e32 v113, v59, v102
	v_lshlrev_b32_e32 v58, v58, v112
	v_cmp_ne_u32_e64 s1, v54, v96
	s_wait_alu 0xfffd
	v_cndmask_b32_e64 v80, 0, 1, vcc_lo
	v_cmp_ne_u32_e32 vcc_lo, 0, v81
	v_med3_i32 v61, v61, 0, 13
	v_lshrrev_b32_e32 v114, v60, v104
	v_lshlrev_b32_e32 v59, v59, v113
	v_med3_i32 v79, v79, 0, 13
	s_wait_alu 0xfffd
	v_cndmask_b32_e64 v81, 0, 1, vcc_lo
	v_cmp_ne_u32_e32 vcc_lo, v55, v97
	v_lshrrev_b32_e32 v115, v61, v105
	v_lshlrev_b32_e32 v60, v60, v114
	v_med3_i32 v94, v116, 0, 13
	v_lshrrev_b32_e32 v116, v62, v107
	s_wait_alu 0xfffd
	v_cndmask_b32_e64 v96, 0, 1, vcc_lo
	v_cmp_ne_u32_e32 vcc_lo, v56, v98
	v_lshlrev_b32_e32 v61, v61, v115
	v_med3_i32 v82, v82, 0, 13
	v_lshlrev_b32_e32 v62, v62, v116
	v_lshrrev_b32_e32 v135, v79, v117
	s_wait_alu 0xfffd
	v_cndmask_b32_e64 v56, 0, 1, vcc_lo
	v_cmp_ne_u32_e32 vcc_lo, v58, v101
	v_med3_i32 v85, v85, 0, 13
	v_lshrrev_b32_e32 v136, v82, v118
	v_lshlrev_b32_e32 v79, v79, v135
	v_lshrrev_b32_e32 v138, v88, v120
	s_wait_alu 0xfffd
	v_cndmask_b32_e64 v58, 0, 1, vcc_lo
	v_cmp_ne_u32_e32 vcc_lo, v59, v102
	v_lshrrev_b32_e32 v137, v85, v119
	v_lshlrev_b32_e32 v82, v82, v136
	v_lshrrev_b32_e32 v139, v89, v121
	v_lshlrev_b32_e32 v88, v88, v138
	s_wait_alu 0xfffd
	v_cndmask_b32_e64 v59, 0, 1, vcc_lo
	v_cmp_ne_u32_e32 vcc_lo, v60, v104
	v_lshlrev_b32_e32 v85, v85, v137
	v_lshrrev_b32_e32 v111, v57, v100
	v_lshrrev_b32_e32 v55, v90, v122
	v_lshlrev_b32_e32 v89, v89, v139
	s_wait_alu 0xfffd
	v_cndmask_b32_e64 v60, 0, 1, vcc_lo
	v_cmp_ne_u32_e32 vcc_lo, v61, v105
	v_lshlrev_b32_e32 v57, v57, v111
	v_lshrrev_b32_e32 v97, v92, v123
	v_lshlrev_b32_e32 v90, v90, v55
	s_wait_alu 0xf1ff
	v_cndmask_b32_e64 v54, 0, 1, s1
	s_wait_alu 0xfffd
	v_cndmask_b32_e64 v61, 0, 1, vcc_lo
	v_cmp_ne_u32_e32 vcc_lo, v62, v107
	v_cmp_ne_u32_e64 s0, v57, v100
	v_lshrrev_b32_e32 v57, v93, v124
	v_lshlrev_b32_e32 v92, v92, v97
	v_lshrrev_b32_e32 v100, v94, v125
	s_wait_alu 0xfffd
	v_cndmask_b32_e64 v62, 0, 1, vcc_lo
	v_cmp_ne_u32_e32 vcc_lo, v79, v117
	v_lshlrev_b32_e32 v93, v93, v57
	v_or_b32_e32 v54, v108, v54
	v_lshlrev_b32_e32 v94, v94, v100
	v_or_b32_e32 v96, v109, v96
	s_wait_alu 0xfffd
	v_cndmask_b32_e64 v79, 0, 1, vcc_lo
	v_cmp_ne_u32_e32 vcc_lo, v82, v118
	s_wait_alu 0xf1ff
	v_cndmask_b32_e64 v98, 0, 1, s0
	v_or_b32_e32 v56, v110, v56
	v_or_b32_e32 v58, v112, v58
	;; [unrolled: 1-line block ×3, first 2 shown]
	s_wait_alu 0xfffd
	v_cndmask_b32_e64 v82, 0, 1, vcc_lo
	v_cmp_ne_u32_e32 vcc_lo, v85, v119
	v_or_b32_e32 v98, v111, v98
	v_or_b32_e32 v60, v114, v60
	;; [unrolled: 1-line block ×4, first 2 shown]
	s_wait_alu 0xfffd
	v_cndmask_b32_e64 v85, 0, 1, vcc_lo
	v_cmp_ne_u32_e32 vcc_lo, v88, v120
	v_or_b32_e32 v79, v135, v79
	v_or_b32_e32 v82, v136, v82
	v_lshl_or_b32 v66, v66, 9, 0x7c00
	v_lshl_or_b32 v67, v67, 9, 0x7c00
	s_wait_alu 0xfffd
	v_cndmask_b32_e64 v88, 0, 1, vcc_lo
	v_cmp_ne_u32_e32 vcc_lo, v89, v121
	v_lshl_or_b32 v68, v68, 9, 0x7c00
	v_lshl_or_b32 v69, v69, 9, 0x7c00
	v_lshl_or_b32 v70, v70, 9, 0x7c00
	v_lshl_or_b32 v71, v71, 9, 0x7c00
	s_wait_alu 0xfffd
	v_cndmask_b32_e64 v89, 0, 1, vcc_lo
	v_cmp_ne_u32_e32 vcc_lo, v90, v122
	v_lshl_or_b32 v72, v72, 9, 0x7c00
	v_lshl_or_b32 v73, v73, 9, 0x7c00
	v_lshl_or_b32 v74, v74, 9, 0x7c00
	v_lshl_or_b32 v63, v63, 9, 0x7c00
	s_wait_alu 0xfffd
	v_cndmask_b32_e64 v90, 0, 1, vcc_lo
	v_cmp_ne_u32_e32 vcc_lo, v92, v123
	v_lshl_or_b32 v64, v64, 9, 0x7c00
	v_lshl_or_b32 v65, v65, 9, 0x7c00
	v_lshl_or_b32 v75, v75, 9, 0x7c00
	v_or_b32_e32 v55, v55, v90
	s_wait_alu 0xfffd
	v_cndmask_b32_e64 v92, 0, 1, vcc_lo
	v_cmp_ne_u32_e32 vcc_lo, v93, v124
	v_lshl_or_b32 v76, v76, 9, 0x7c00
	v_lshl_or_b32 v77, v77, 9, 0x7c00
	;; [unrolled: 1-line block ×4, first 2 shown]
	s_wait_alu 0xfffd
	v_cndmask_b32_e64 v93, 0, 1, vcc_lo
	v_cmp_ne_u32_e32 vcc_lo, v94, v125
	v_lshl_or_b32 v81, v81, 9, 0x7c00
	s_delay_alu instid0(VALU_DEP_3)
	v_or_b32_e32 v57, v57, v93
	s_wait_alu 0xfffd
	v_cndmask_b32_e64 v94, 0, 1, vcc_lo
	v_cmp_gt_i32_e32 vcc_lo, 1, v44
	s_wait_alu 0xfffd
	v_cndmask_b32_e32 v54, v83, v54, vcc_lo
	v_cmp_gt_i32_e32 vcc_lo, 1, v43
	s_wait_alu 0xfffd
	s_delay_alu instid0(VALU_DEP_2)
	v_dual_cndmask_b32 v83, v84, v96 :: v_dual_and_b32 v90, 7, v54
	v_cmp_gt_i32_e32 vcc_lo, 1, v42
	v_or_b32_e32 v84, v137, v85
	v_or_b32_e32 v85, v138, v88
	v_or_b32_e32 v88, v97, v92
	v_cmp_eq_u32_e64 s0, 3, v90
	s_wait_alu 0xfffd
	v_cndmask_b32_e32 v56, v86, v56, vcc_lo
	v_cmp_gt_i32_e32 vcc_lo, 1, v41
	v_lshrrev_b32_e32 v54, 2, v54
	s_delay_alu instid0(VALU_DEP_3)
	v_and_b32_e32 v92, 7, v56
	s_wait_alu 0xfffd
	v_cndmask_b32_e32 v86, v87, v98, vcc_lo
	v_cmp_gt_i32_e32 vcc_lo, 1, v40
	v_or_b32_e32 v87, v139, v89
	v_or_b32_e32 v89, v100, v94
	v_cmp_lt_i32_e64 s3, 5, v92
	v_and_b32_e32 v93, 7, v86
	s_wait_alu 0xfffd
	v_cndmask_b32_e32 v58, v91, v58, vcc_lo
	v_cmp_gt_i32_e32 vcc_lo, 1, v39
	v_and_b32_e32 v91, 7, v83
	v_lshrrev_b32_e32 v83, 2, v83
	v_cmp_eq_u32_e64 s4, 3, v92
	s_wait_alu 0xfffd
	v_dual_cndmask_b32 v59, v95, v59 :: v_dual_and_b32 v94, 7, v58
	v_cmp_gt_i32_e32 vcc_lo, 1, v38
	v_cmp_lt_i32_e64 s1, 5, v91
	v_cmp_eq_u32_e64 s2, 3, v91
	v_lshrrev_b32_e32 v56, 2, v56
	v_cmp_lt_i32_e64 s5, 5, v93
	s_wait_alu 0xfffd
	v_cndmask_b32_e32 v60, v99, v60, vcc_lo
	v_cmp_gt_i32_e32 vcc_lo, 1, v37
	v_cmp_eq_u32_e64 s6, 3, v93
	v_and_b32_e32 v95, 7, v59
	v_lshrrev_b32_e32 v86, 2, v86
	v_cmp_lt_i32_e64 s7, 5, v94
	s_wait_alu 0xfffd
	v_cndmask_b32_e32 v61, v103, v61, vcc_lo
	v_cmp_gt_i32_e32 vcc_lo, 1, v36
	v_cmp_eq_u32_e64 s8, 3, v94
	v_and_b32_e32 v96, 7, v60
	;; [unrolled: 7-line block ×4, first 2 shown]
	v_lshrrev_b32_e32 v60, 2, v60
	v_cmp_lt_i32_e64 s13, 5, v97
	s_wait_alu 0xfffd
	v_cndmask_b32_e32 v82, v127, v82, vcc_lo
	v_cmp_gt_i32_e32 vcc_lo, 1, v45
	v_cmp_eq_u32_e64 s14, 3, v97
	v_lshrrev_b32_e32 v61, 2, v61
	v_cmp_lt_i32_e64 s15, 5, v98
	v_cmp_eq_u32_e64 s16, 3, v98
	s_wait_alu 0xfffd
	v_cndmask_b32_e32 v84, v128, v84, vcc_lo
	v_cmp_gt_i32_e32 vcc_lo, 1, v51
	v_lshrrev_b32_e32 v62, 2, v62
	v_and_b32_e32 v91, 7, v82
	v_lshrrev_b32_e32 v82, 2, v82
	s_wait_alu 0xfffd
	v_dual_cndmask_b32 v85, v129, v85 :: v_dual_and_b32 v92, 7, v84
	v_cmp_gt_i32_e32 vcc_lo, 1, v46
	v_cmp_lt_i32_e64 s19, 5, v91
	v_cmp_eq_u32_e64 s20, 3, v91
	s_delay_alu instid0(VALU_DEP_4)
	v_cmp_lt_i32_e64 s21, 5, v92
	v_cmp_eq_u32_e64 s22, 3, v92
	s_wait_alu 0xfffd
	v_cndmask_b32_e32 v87, v130, v87, vcc_lo
	v_cmp_gt_i32_e32 vcc_lo, 1, v52
	v_lshrrev_b32_e32 v84, 2, v84
	v_and_b32_e32 v93, 7, v85
	v_lshrrev_b32_e32 v85, 2, v85
	v_and_b32_e32 v94, 7, v87
	s_wait_alu 0xfffd
	v_cndmask_b32_e32 v55, v131, v55, vcc_lo
	v_cmp_gt_i32_e32 vcc_lo, 1, v47
	v_cmp_lt_i32_e64 s23, 5, v93
	v_cmp_eq_u32_e64 s24, 3, v93
	v_cmp_lt_i32_e64 s25, 5, v94
	v_cmp_eq_u32_e64 s26, 3, v94
	s_wait_alu 0xfffd
	v_cndmask_b32_e32 v88, v132, v88, vcc_lo
	v_cmp_gt_i32_e32 vcc_lo, 1, v53
	v_lshrrev_b32_e32 v87, 2, v87
	v_and_b32_e32 v95, 7, v55
	v_lshrrev_b32_e32 v55, 2, v55
	s_wait_alu 0xfffd
	v_dual_cndmask_b32 v57, v133, v57 :: v_dual_and_b32 v96, 7, v88
	v_cmp_gt_i32_e32 vcc_lo, 1, v48
	v_cmp_lt_i32_e64 s27, 5, v95
	v_cmp_eq_u32_e64 s28, 3, v95
	s_delay_alu instid0(VALU_DEP_4)
	v_cmp_lt_i32_e64 s29, 5, v96
	v_cmp_eq_u32_e64 s30, 3, v96
	s_wait_alu 0xfffd
	v_cndmask_b32_e32 v89, v134, v89, vcc_lo
	v_cmp_lt_i32_e32 vcc_lo, 5, v90
	v_and_b32_e32 v90, 7, v79
	v_lshrrev_b32_e32 v79, 2, v79
	v_lshrrev_b32_e32 v88, 2, v88
	v_and_b32_e32 v97, 7, v57
	s_or_b32 vcc_lo, s0, vcc_lo
	v_cmp_lt_i32_e64 s17, 5, v90
	s_wait_alu 0xfffe
	v_add_co_ci_u32_e32 v54, vcc_lo, 0, v54, vcc_lo
	s_or_b32 vcc_lo, s2, s1
	v_cmp_eq_u32_e64 s18, 3, v90
	s_wait_alu 0xfffe
	v_add_co_ci_u32_e32 v83, vcc_lo, 0, v83, vcc_lo
	s_or_b32 vcc_lo, s4, s3
	v_cmp_lt_i32_e64 s31, 5, v97
	s_wait_alu 0xfffe
	v_add_co_ci_u32_e32 v56, vcc_lo, 0, v56, vcc_lo
	s_or_b32 vcc_lo, s6, s5
	v_cmp_eq_u32_e64 s33, 3, v97
	s_wait_alu 0xfffe
	v_add_co_ci_u32_e32 v86, vcc_lo, 0, v86, vcc_lo
	s_or_b32 vcc_lo, s8, s7
	v_lshrrev_b32_e32 v57, 2, v57
	s_wait_alu 0xfffe
	v_add_co_ci_u32_e32 v58, vcc_lo, 0, v58, vcc_lo
	s_or_b32 vcc_lo, s10, s9
	v_and_b32_e32 v98, 7, v89
	s_wait_alu 0xfffe
	v_add_co_ci_u32_e32 v59, vcc_lo, 0, v59, vcc_lo
	s_or_b32 vcc_lo, s12, s11
	v_lshrrev_b32_e32 v89, 2, v89
	s_wait_alu 0xfffe
	v_add_co_ci_u32_e32 v60, vcc_lo, 0, v60, vcc_lo
	s_or_b32 vcc_lo, s14, s13
	v_cmp_lt_i32_e64 s34, 5, v98
	s_wait_alu 0xfffe
	v_add_co_ci_u32_e32 v61, vcc_lo, 0, v61, vcc_lo
	s_or_b32 vcc_lo, s16, s15
	v_cmp_eq_u32_e64 s35, 3, v98
	s_wait_alu 0xfffe
	v_add_co_ci_u32_e32 v62, vcc_lo, 0, v62, vcc_lo
	s_or_b32 vcc_lo, s18, s17
	s_wait_alu 0xfffe
	v_add_co_ci_u32_e32 v79, vcc_lo, 0, v79, vcc_lo
	v_cmp_gt_i32_e32 vcc_lo, 31, v44
	s_wait_alu 0xfffd
	v_cndmask_b32_e32 v54, 0x7c00, v54, vcc_lo
	s_or_b32 vcc_lo, s20, s19
	s_wait_alu 0xfffe
	v_add_co_ci_u32_e32 v82, vcc_lo, 0, v82, vcc_lo
	v_cmp_gt_i32_e32 vcc_lo, 31, v43
	s_wait_alu 0xfffd
	v_cndmask_b32_e32 v83, 0x7c00, v83, vcc_lo
	;; [unrolled: 6-line block ×9, first 2 shown]
	v_cmp_gt_i32_e32 vcc_lo, 31, v49
	s_wait_alu 0xfffd
	v_cndmask_b32_e32 v79, 0x7c00, v79, vcc_lo
	v_cmp_eq_u32_e32 vcc_lo, 0x40f, v44
	s_wait_alu 0xfffd
	v_cndmask_b32_e32 v44, v54, v66, vcc_lo
	v_cmp_gt_i32_e32 vcc_lo, 31, v50
	s_delay_alu instid0(VALU_DEP_2)
	v_and_or_b32 v18, 0x8000, v18, v44
	s_wait_alu 0xfffd
	v_cndmask_b32_e32 v54, 0x7c00, v82, vcc_lo
	v_cmp_eq_u32_e32 vcc_lo, 0x40f, v43
	s_wait_alu 0xfffd
	v_cndmask_b32_e32 v43, v83, v67, vcc_lo
	v_cmp_gt_i32_e32 vcc_lo, 31, v45
	s_delay_alu instid0(VALU_DEP_2)
	v_and_or_b32 v19, 0x8000, v19, v43
	;; [unrolled: 8-line block ×8, first 2 shown]
	s_wait_alu 0xfffd
	v_cndmask_b32_e32 v59, 0x7c00, v89, vcc_lo
	v_cmp_eq_u32_e32 vcc_lo, 0x40f, v36
	s_wait_alu 0xfffd
	v_cndmask_b32_e32 v36, v62, v74, vcc_lo
	v_cmp_eq_u32_e32 vcc_lo, 0x40f, v49
	s_delay_alu instid0(VALU_DEP_2) | instskip(SKIP_3) | instid1(VALU_DEP_2)
	v_and_or_b32 v26, 0x8000, v26, v36
	s_wait_alu 0xfffd
	v_cndmask_b32_e32 v49, v79, v63, vcc_lo
	v_cmp_eq_u32_e32 vcc_lo, 0x40f, v50
	v_and_or_b32 v27, 0x8000, v27, v49
	s_wait_alu 0xfffd
	v_cndmask_b32_e32 v44, v54, v64, vcc_lo
	v_cmp_eq_u32_e32 vcc_lo, 0x40f, v45
	s_delay_alu instid0(VALU_DEP_3) | instskip(NEXT) | instid1(VALU_DEP_3)
	v_and_b32_e32 v27, 0xffff, v27
	v_and_or_b32 v28, 0x8000, v28, v44
	s_wait_alu 0xfffd
	v_cndmask_b32_e32 v43, v66, v65, vcc_lo
	v_cmp_eq_u32_e32 vcc_lo, 0x40f, v51
	v_lshl_or_b32 v18, v18, 16, v27
	v_and_b32_e32 v28, 0xffff, v28
	s_delay_alu instid0(VALU_DEP_4)
	v_and_or_b32 v29, 0x8000, v29, v43
	s_wait_alu 0xfffd
	v_cndmask_b32_e32 v42, v56, v75, vcc_lo
	v_cmp_eq_u32_e32 vcc_lo, 0x40f, v46
	v_lshl_or_b32 v19, v19, 16, v28
	v_and_b32_e32 v29, 0xffff, v29
	s_delay_alu instid0(VALU_DEP_4)
	;; [unrolled: 7-line block ×5, first 2 shown]
	v_and_or_b32 v33, 0x8000, v33, v39
	s_wait_alu 0xfffd
	v_cndmask_b32_e32 v38, v57, v80, vcc_lo
	v_cmp_eq_u32_e32 vcc_lo, 0x40f, v48
	v_lshl_or_b32 v23, v23, 16, v32
	v_and_b32_e32 v33, 0xffff, v33
	s_delay_alu instid0(VALU_DEP_4) | instskip(SKIP_2) | instid1(VALU_DEP_3)
	v_and_or_b32 v34, 0x8000, v34, v38
	s_wait_alu 0xfffd
	v_cndmask_b32_e32 v37, v59, v81, vcc_lo
	v_lshl_or_b32 v24, v24, 16, v33
	s_delay_alu instid0(VALU_DEP_3) | instskip(NEXT) | instid1(VALU_DEP_3)
	v_and_b32_e32 v34, 0xffff, v34
	v_and_or_b32 v35, 0x8000, v35, v37
	s_delay_alu instid0(VALU_DEP_2) | instskip(NEXT) | instid1(VALU_DEP_2)
	v_lshl_or_b32 v25, v25, 16, v34
	v_and_b32_e32 v35, 0xffff, v35
	s_delay_alu instid0(VALU_DEP_1)
	v_lshl_or_b32 v26, v26, 16, v35
	s_clause 0x4
	global_store_b32 v[0:1], v18, off
	global_store_b32 v[2:3], v19, off
	;; [unrolled: 1-line block ×9, first 2 shown]
.LBB0_2:
	s_nop 0
	s_sendmsg sendmsg(MSG_DEALLOC_VGPRS)
	s_endpgm
	.section	.rodata,"a",@progbits
	.p2align	6, 0x0
	.amdhsa_kernel bluestein_single_back_len2187_dim1_half_op_CI_CI
		.amdhsa_group_segment_fixed_size 8748
		.amdhsa_private_segment_fixed_size 0
		.amdhsa_kernarg_size 104
		.amdhsa_user_sgpr_count 2
		.amdhsa_user_sgpr_dispatch_ptr 0
		.amdhsa_user_sgpr_queue_ptr 0
		.amdhsa_user_sgpr_kernarg_segment_ptr 1
		.amdhsa_user_sgpr_dispatch_id 0
		.amdhsa_user_sgpr_private_segment_size 0
		.amdhsa_wavefront_size32 1
		.amdhsa_uses_dynamic_stack 0
		.amdhsa_enable_private_segment 0
		.amdhsa_system_sgpr_workgroup_id_x 1
		.amdhsa_system_sgpr_workgroup_id_y 0
		.amdhsa_system_sgpr_workgroup_id_z 0
		.amdhsa_system_sgpr_workgroup_info 0
		.amdhsa_system_vgpr_workitem_id 0
		.amdhsa_next_free_vgpr 140
		.amdhsa_next_free_sgpr 36
		.amdhsa_reserve_vcc 1
		.amdhsa_float_round_mode_32 0
		.amdhsa_float_round_mode_16_64 0
		.amdhsa_float_denorm_mode_32 3
		.amdhsa_float_denorm_mode_16_64 3
		.amdhsa_fp16_overflow 0
		.amdhsa_workgroup_processor_mode 1
		.amdhsa_memory_ordered 1
		.amdhsa_forward_progress 0
		.amdhsa_round_robin_scheduling 0
		.amdhsa_exception_fp_ieee_invalid_op 0
		.amdhsa_exception_fp_denorm_src 0
		.amdhsa_exception_fp_ieee_div_zero 0
		.amdhsa_exception_fp_ieee_overflow 0
		.amdhsa_exception_fp_ieee_underflow 0
		.amdhsa_exception_fp_ieee_inexact 0
		.amdhsa_exception_int_div_zero 0
	.end_amdhsa_kernel
	.text
.Lfunc_end0:
	.size	bluestein_single_back_len2187_dim1_half_op_CI_CI, .Lfunc_end0-bluestein_single_back_len2187_dim1_half_op_CI_CI
                                        ; -- End function
	.section	.AMDGPU.csdata,"",@progbits
; Kernel info:
; codeLenInByte = 17464
; NumSgprs: 38
; NumVgprs: 140
; ScratchSize: 0
; MemoryBound: 0
; FloatMode: 240
; IeeeMode: 1
; LDSByteSize: 8748 bytes/workgroup (compile time only)
; SGPRBlocks: 4
; VGPRBlocks: 17
; NumSGPRsForWavesPerEU: 38
; NumVGPRsForWavesPerEU: 140
; Occupancy: 10
; WaveLimiterHint : 1
; COMPUTE_PGM_RSRC2:SCRATCH_EN: 0
; COMPUTE_PGM_RSRC2:USER_SGPR: 2
; COMPUTE_PGM_RSRC2:TRAP_HANDLER: 0
; COMPUTE_PGM_RSRC2:TGID_X_EN: 1
; COMPUTE_PGM_RSRC2:TGID_Y_EN: 0
; COMPUTE_PGM_RSRC2:TGID_Z_EN: 0
; COMPUTE_PGM_RSRC2:TIDIG_COMP_CNT: 0
	.text
	.p2alignl 7, 3214868480
	.fill 96, 4, 3214868480
	.type	__hip_cuid_f58d23f337a359db,@object ; @__hip_cuid_f58d23f337a359db
	.section	.bss,"aw",@nobits
	.globl	__hip_cuid_f58d23f337a359db
__hip_cuid_f58d23f337a359db:
	.byte	0                               ; 0x0
	.size	__hip_cuid_f58d23f337a359db, 1

	.ident	"AMD clang version 19.0.0git (https://github.com/RadeonOpenCompute/llvm-project roc-6.4.0 25133 c7fe45cf4b819c5991fe208aaa96edf142730f1d)"
	.section	".note.GNU-stack","",@progbits
	.addrsig
	.addrsig_sym __hip_cuid_f58d23f337a359db
	.amdgpu_metadata
---
amdhsa.kernels:
  - .args:
      - .actual_access:  read_only
        .address_space:  global
        .offset:         0
        .size:           8
        .value_kind:     global_buffer
      - .actual_access:  read_only
        .address_space:  global
        .offset:         8
        .size:           8
        .value_kind:     global_buffer
      - .actual_access:  read_only
        .address_space:  global
        .offset:         16
        .size:           8
        .value_kind:     global_buffer
      - .actual_access:  read_only
        .address_space:  global
        .offset:         24
        .size:           8
        .value_kind:     global_buffer
      - .actual_access:  read_only
        .address_space:  global
        .offset:         32
        .size:           8
        .value_kind:     global_buffer
      - .offset:         40
        .size:           8
        .value_kind:     by_value
      - .address_space:  global
        .offset:         48
        .size:           8
        .value_kind:     global_buffer
      - .address_space:  global
        .offset:         56
        .size:           8
        .value_kind:     global_buffer
      - .address_space:  global
        .offset:         64
        .size:           8
        .value_kind:     global_buffer
      - .address_space:  global
        .offset:         72
        .size:           8
        .value_kind:     global_buffer
      - .offset:         80
        .size:           4
        .value_kind:     by_value
      - .address_space:  global
        .offset:         88
        .size:           8
        .value_kind:     global_buffer
      - .address_space:  global
        .offset:         96
        .size:           8
        .value_kind:     global_buffer
    .group_segment_fixed_size: 8748
    .kernarg_segment_align: 8
    .kernarg_segment_size: 104
    .language:       OpenCL C
    .language_version:
      - 2
      - 0
    .max_flat_workgroup_size: 243
    .name:           bluestein_single_back_len2187_dim1_half_op_CI_CI
    .private_segment_fixed_size: 0
    .sgpr_count:     38
    .sgpr_spill_count: 0
    .symbol:         bluestein_single_back_len2187_dim1_half_op_CI_CI.kd
    .uniform_work_group_size: 1
    .uses_dynamic_stack: false
    .vgpr_count:     140
    .vgpr_spill_count: 0
    .wavefront_size: 32
    .workgroup_processor_mode: 1
amdhsa.target:   amdgcn-amd-amdhsa--gfx1201
amdhsa.version:
  - 1
  - 2
...

	.end_amdgpu_metadata
